;; amdgpu-corpus repo=ROCm/rocFFT kind=compiled arch=gfx1201 opt=O3
	.text
	.amdgcn_target "amdgcn-amd-amdhsa--gfx1201"
	.amdhsa_code_object_version 6
	.protected	bluestein_single_fwd_len3456_dim1_half_op_CI_CI ; -- Begin function bluestein_single_fwd_len3456_dim1_half_op_CI_CI
	.globl	bluestein_single_fwd_len3456_dim1_half_op_CI_CI
	.p2align	8
	.type	bluestein_single_fwd_len3456_dim1_half_op_CI_CI,@function
bluestein_single_fwd_len3456_dim1_half_op_CI_CI: ; @bluestein_single_fwd_len3456_dim1_half_op_CI_CI
; %bb.0:
	s_load_b128 s[12:15], s[0:1], 0x28
	v_mul_u32_u24_e32 v1, 0x1c8, v0
	s_mov_b32 s2, exec_lo
	v_mov_b32_e32 v93, 0
	s_delay_alu instid0(VALU_DEP_2) | instskip(NEXT) | instid1(VALU_DEP_1)
	v_lshrrev_b32_e32 v1, 16, v1
	v_add_nc_u32_e32 v92, ttmp9, v1
	s_wait_kmcnt 0x0
	s_delay_alu instid0(VALU_DEP_1)
	v_cmpx_gt_u64_e64 s[12:13], v[92:93]
	s_cbranch_execz .LBB0_2
; %bb.1:
	s_clause 0x1
	s_load_b128 s[8:11], s[0:1], 0x18
	s_load_b128 s[4:7], s[0:1], 0x0
	v_mul_lo_u16 v1, 0x90, v1
	s_movk_i32 s12, 0xd540
	s_mov_b32 s13, -1
	s_load_b64 s[0:1], s[0:1], 0x38
	s_delay_alu instid0(VALU_DEP_1) | instskip(NEXT) | instid1(VALU_DEP_1)
	v_sub_nc_u16 v37, v0, v1
	v_and_b32_e32 v129, 0xffff, v37
	s_delay_alu instid0(VALU_DEP_1)
	v_or_b32_e32 v118, 0x900, v129
	v_lshlrev_b32_e32 v117, 2, v129
	v_add_co_u32 v38, null, 0x90, v129
	s_wait_kmcnt 0x0
	s_load_b128 s[16:19], s[8:9], 0x0
	v_add_co_u32 v32, null, 0x1b0, v129
	s_clause 0x2
	global_load_b32 v114, v117, s[4:5]
	global_load_b32 v111, v117, s[4:5] offset:9216
	global_load_b32 v116, v117, s[4:5] offset:2304
	v_add_nc_u32_e32 v131, 0x1400, v117
	v_add_nc_u32_e32 v133, 0x1c00, v117
	;; [unrolled: 1-line block ×15, first 2 shown]
	s_wait_kmcnt 0x0
	v_mad_co_u64_u32 v[0:1], null, s18, v92, 0
	v_mad_co_u64_u32 v[2:3], null, s16, v129, 0
	v_mad_co_u64_u32 v[4:5], null, s16, v118, 0
	s_mul_u64 s[2:3], s[16:17], 0x900
	s_mul_u64 s[8:9], s[16:17], s[12:13]
	v_add_nc_u32_e32 v134, 0x2600, v117
	v_add_nc_u32_e32 v96, 0x400, v117
	s_delay_alu instid0(VALU_DEP_4) | instskip(NEXT) | instid1(VALU_DEP_4)
	v_mad_co_u64_u32 v[6:7], null, s19, v92, v[1:2]
	v_mov_b32_e32 v1, v5
	v_mad_co_u64_u32 v[7:8], null, s17, v129, v[3:4]
	v_add_nc_u32_e32 v128, 0x1200, v117
	s_delay_alu instid0(VALU_DEP_3) | instskip(SKIP_1) | instid1(VALU_DEP_4)
	v_mad_co_u64_u32 v[8:9], null, s17, v118, v[1:2]
	v_mov_b32_e32 v1, v6
	v_mov_b32_e32 v3, v7
	s_delay_alu instid0(VALU_DEP_2) | instskip(NEXT) | instid1(VALU_DEP_4)
	v_lshlrev_b64_e32 v[0:1], 2, v[0:1]
	v_mov_b32_e32 v5, v8
	s_delay_alu instid0(VALU_DEP_3) | instskip(NEXT) | instid1(VALU_DEP_3)
	v_lshlrev_b64_e32 v[2:3], 2, v[2:3]
	v_add_co_u32 v6, vcc_lo, s14, v0
	s_delay_alu instid0(VALU_DEP_4) | instskip(NEXT) | instid1(VALU_DEP_4)
	v_add_co_ci_u32_e32 v7, vcc_lo, s15, v1, vcc_lo
	v_lshlrev_b64_e32 v[0:1], 2, v[4:5]
	s_delay_alu instid0(VALU_DEP_3) | instskip(SKIP_1) | instid1(VALU_DEP_3)
	v_add_co_u32 v2, vcc_lo, v6, v2
	s_wait_alu 0xfffd
	v_add_co_ci_u32_e32 v3, vcc_lo, v7, v3, vcc_lo
	s_delay_alu instid0(VALU_DEP_3)
	v_add_co_u32 v0, vcc_lo, v6, v0
	s_wait_alu 0xfffd
	v_add_co_ci_u32_e32 v1, vcc_lo, v7, v1, vcc_lo
	s_clause 0x1
	global_load_b32 v5, v[2:3], off
	global_load_b32 v6, v[0:1], off
	v_add_co_u32 v0, vcc_lo, v2, s2
	s_wait_alu 0xfffd
	v_add_co_ci_u32_e32 v1, vcc_lo, s3, v3, vcc_lo
	global_load_b32 v7, v[0:1], off
	v_add_co_u32 v0, vcc_lo, v0, s2
	s_wait_alu 0xfffd
	v_add_co_ci_u32_e32 v1, vcc_lo, s3, v1, vcc_lo
	global_load_b32 v112, v117, s[4:5] offset:4608
	global_load_b32 v8, v[0:1], off
	v_add_co_u32 v0, vcc_lo, v0, s2
	s_wait_alu 0xfffd
	v_add_co_ci_u32_e32 v1, vcc_lo, s3, v1, vcc_lo
	s_clause 0xd
	global_load_b32 v103, v117, s[4:5] offset:5184
	global_load_b32 v88, v117, s[4:5] offset:5760
	;; [unrolled: 1-line block ×14, first 2 shown]
	v_mad_co_u64_u32 v[2:3], null, 0x1200, s16, v[0:1]
	s_delay_alu instid0(VALU_DEP_1)
	v_mad_co_u64_u32 v[3:4], null, 0x1200, s17, v[3:4]
	s_clause 0x1
	global_load_b32 v4, v[0:1], off
	global_load_b32 v9, v[2:3], off
	v_add_co_u32 v0, vcc_lo, v2, s8
	s_wait_alu 0xfffd
	v_add_co_ci_u32_e32 v1, vcc_lo, s9, v3, vcc_lo
	s_delay_alu instid0(VALU_DEP_2) | instskip(SKIP_1) | instid1(VALU_DEP_2)
	v_add_co_u32 v2, vcc_lo, v0, s2
	s_wait_alu 0xfffd
	v_add_co_ci_u32_e32 v3, vcc_lo, s3, v1, vcc_lo
	global_load_b32 v10, v[0:1], off
	v_add_co_u32 v0, vcc_lo, v2, s2
	global_load_b32 v14, v[2:3], off
	s_clause 0x5
	global_load_b32 v104, v117, s[4:5] offset:7488
	global_load_b32 v84, v117, s[4:5] offset:8064
	;; [unrolled: 1-line block ×6, first 2 shown]
	s_wait_alu 0xfffd
	v_add_co_ci_u32_e32 v1, vcc_lo, s3, v3, vcc_lo
	s_wait_loadcnt 0x1e
	v_lshrrev_b32_e32 v122, 16, v111
	s_wait_loadcnt 0x1d
	v_lshrrev_b32_e32 v124, 16, v116
	v_lshrrev_b32_e32 v125, 16, v114
	s_wait_loadcnt 0x1c
	v_lshrrev_b32_e32 v11, 16, v5
	s_wait_loadcnt 0x1b
	v_lshrrev_b32_e32 v2, 16, v6
	v_mul_f16_e32 v3, v122, v6
	v_mul_f16_e32 v12, v125, v5
	s_delay_alu instid0(VALU_DEP_3) | instskip(NEXT) | instid1(VALU_DEP_3)
	v_mul_f16_e32 v13, v122, v2
	v_fma_f16 v2, v111, v2, -v3
	s_delay_alu instid0(VALU_DEP_3)
	v_fma_f16 v12, v114, v11, -v12
	s_wait_loadcnt 0x1a
	v_lshrrev_b32_e32 v15, 16, v7
	v_mul_f16_e32 v16, v124, v7
	v_fmac_f16_e32 v13, v111, v6
	v_mul_f16_e32 v11, v125, v11
	s_delay_alu instid0(VALU_DEP_4)
	v_mul_f16_e32 v3, v124, v15
	s_wait_loadcnt 0x19
	v_lshrrev_b32_e32 v121, 16, v112
	s_wait_loadcnt 0x18
	v_lshrrev_b32_e32 v6, 16, v8
	v_fmac_f16_e32 v11, v114, v5
	v_fma_f16 v5, v116, v15, -v16
	v_fmac_f16_e32 v3, v116, v7
	v_mul_f16_e32 v7, v121, v8
	s_wait_loadcnt 0x13
	v_lshrrev_b32_e32 v115, 16, v108
	v_pack_b32_f16 v2, v13, v2
	s_wait_loadcnt 0x11
	v_lshrrev_b32_e32 v113, 16, v109
	v_pack_b32_f16 v3, v3, v5
	v_fma_f16 v7, v112, v6, -v7
	v_mul_f16_e32 v6, v121, v6
	s_wait_loadcnt 0x10
	v_lshrrev_b32_e32 v17, 16, v87
	v_lshrrev_b32_e32 v110, 16, v103
	s_delay_alu instid0(VALU_DEP_3) | instskip(SKIP_2) | instid1(VALU_DEP_2)
	v_fmac_f16_e32 v6, v112, v8
	s_wait_loadcnt 0x9
	v_lshrrev_b32_e32 v8, 16, v4
	v_pack_b32_f16 v5, v6, v7
	s_wait_loadcnt 0x8
	v_lshrrev_b32_e32 v7, 16, v9
	s_wait_loadcnt 0x5
	v_lshrrev_b32_e32 v107, 16, v104
	;; [unrolled: 2-line block ×4, first 2 shown]
	s_delay_alu instid0(VALU_DEP_2) | instskip(NEXT) | instid1(VALU_DEP_1)
	v_mul_f16_e32 v15, v120, v4
	v_fma_f16 v15, v119, v8, -v15
	v_mul_f16_e32 v8, v120, v8
	s_delay_alu instid0(VALU_DEP_1) | instskip(SKIP_2) | instid1(VALU_DEP_3)
	v_fmac_f16_e32 v8, v119, v4
	v_pack_b32_f16 v4, v11, v12
	v_mul_f16_e32 v11, v115, v10
	v_pack_b32_f16 v6, v8, v15
	v_mul_f16_e32 v8, v106, v9
	ds_store_b32 v117, v3 offset:2304
	ds_store_b32 v117, v5 offset:4608
	;; [unrolled: 1-line block ×3, first 2 shown]
	v_mul_f16_e32 v15, v113, v14
	v_fma_f16 v8, v105, v7, -v8
	v_mul_f16_e32 v7, v106, v7
	s_delay_alu instid0(VALU_DEP_1) | instskip(SKIP_1) | instid1(VALU_DEP_2)
	v_fmac_f16_e32 v7, v105, v9
	v_lshrrev_b32_e32 v9, 16, v10
	v_pack_b32_f16 v7, v7, v8
	s_delay_alu instid0(VALU_DEP_2)
	v_fma_f16 v11, v108, v9, -v11
	v_mul_f16_e32 v9, v115, v9
	ds_store_b32 v117, v2 offset:9216
	ds_store_b32 v117, v7 offset:11520
	v_add_co_u32 v2, vcc_lo, v0, s2
	v_fmac_f16_e32 v9, v108, v10
	s_wait_alu 0xfffd
	v_add_co_ci_u32_e32 v3, vcc_lo, s3, v1, vcc_lo
	s_delay_alu instid0(VALU_DEP_2) | instskip(SKIP_4) | instid1(VALU_DEP_2)
	v_pack_b32_f16 v5, v9, v11
	ds_store_2addr_b32 v117, v4, v5 offset1:144
	v_add_co_u32 v4, vcc_lo, v2, s2
	s_wait_alu 0xfffd
	v_add_co_ci_u32_e32 v5, vcc_lo, s3, v3, vcc_lo
	v_add_co_u32 v6, vcc_lo, v4, s2
	s_wait_alu 0xfffd
	s_delay_alu instid0(VALU_DEP_2) | instskip(SKIP_4) | instid1(VALU_DEP_2)
	v_add_co_ci_u32_e32 v7, vcc_lo, s3, v5, vcc_lo
	global_load_b32 v4, v[4:5], off
	v_add_co_u32 v8, vcc_lo, v6, s8
	s_wait_alu 0xfffd
	v_add_co_ci_u32_e32 v9, vcc_lo, s9, v7, vcc_lo
	v_add_co_u32 v10, vcc_lo, v8, s2
	s_wait_alu 0xfffd
	s_delay_alu instid0(VALU_DEP_2) | instskip(NEXT) | instid1(VALU_DEP_2)
	v_add_co_ci_u32_e32 v11, vcc_lo, s3, v9, vcc_lo
	v_add_co_u32 v12, vcc_lo, v10, s2
	global_load_b32 v10, v[10:11], off
	s_wait_alu 0xfffd
	v_add_co_ci_u32_e32 v13, vcc_lo, s3, v11, vcc_lo
	v_lshrrev_b32_e32 v11, 16, v14
	s_delay_alu instid0(VALU_DEP_1) | instskip(SKIP_1) | instid1(VALU_DEP_1)
	v_fma_f16 v15, v109, v11, -v15
	v_mul_f16_e32 v11, v113, v11
	v_fmac_f16_e32 v11, v109, v14
	s_wait_loadcnt 0x0
	v_lshrrev_b32_e32 v14, 16, v10
	v_mul_f16_e32 v16, v17, v10
	s_delay_alu instid0(VALU_DEP_1) | instskip(SKIP_1) | instid1(VALU_DEP_1)
	v_fma_f16 v16, v87, v14, -v16
	v_mul_f16_e32 v14, v17, v14
	v_fmac_f16_e32 v14, v87, v10
	v_pack_b32_f16 v10, v11, v15
	v_lshrrev_b32_e32 v15, 16, v88
	s_delay_alu instid0(VALU_DEP_3)
	v_pack_b32_f16 v11, v14, v16
	ds_store_2addr_b32 v132, v10, v11 offset0:80 offset1:224
	global_load_b32 v10, v[0:1], off
	global_load_b32 v11, v[12:13], off
	v_add_co_u32 v0, vcc_lo, v12, s2
	s_wait_alu 0xfffd
	v_add_co_ci_u32_e32 v1, vcc_lo, s3, v13, vcc_lo
	s_wait_loadcnt 0x1
	v_lshrrev_b32_e32 v12, 16, v10
	v_mul_f16_e32 v13, v110, v10
	s_wait_loadcnt 0x0
	v_mul_f16_e32 v14, v15, v11
	s_delay_alu instid0(VALU_DEP_2) | instskip(SKIP_1) | instid1(VALU_DEP_1)
	v_fma_f16 v13, v103, v12, -v13
	v_mul_f16_e32 v12, v110, v12
	v_fmac_f16_e32 v12, v103, v10
	v_lshrrev_b32_e32 v10, 16, v11
	s_delay_alu instid0(VALU_DEP_1) | instskip(SKIP_1) | instid1(VALU_DEP_1)
	v_fma_f16 v14, v88, v10, -v14
	v_mul_f16_e32 v10, v15, v10
	v_fmac_f16_e32 v10, v88, v11
	v_pack_b32_f16 v11, v12, v13
	v_lshrrev_b32_e32 v13, 16, v84
	s_delay_alu instid0(VALU_DEP_3)
	v_pack_b32_f16 v10, v10, v14
	ds_store_2addr_b32 v131, v11, v10 offset0:16 offset1:160
	global_load_b32 v10, v[2:3], off
	v_add_co_u32 v2, vcc_lo, v0, s2
	global_load_b32 v0, v[0:1], off
	s_wait_alu 0xfffd
	v_add_co_ci_u32_e32 v3, vcc_lo, s3, v1, vcc_lo
	s_wait_loadcnt 0x1
	v_lshrrev_b32_e32 v1, 16, v10
	v_mul_f16_e32 v11, v107, v10
	s_wait_loadcnt 0x0
	v_mul_f16_e32 v12, v13, v0
	s_delay_alu instid0(VALU_DEP_2) | instskip(SKIP_1) | instid1(VALU_DEP_1)
	v_fma_f16 v11, v104, v1, -v11
	v_mul_f16_e32 v1, v107, v1
	v_fmac_f16_e32 v1, v104, v10
	v_lshrrev_b32_e32 v10, 16, v0
	s_delay_alu instid0(VALU_DEP_1) | instskip(SKIP_1) | instid1(VALU_DEP_1)
	v_fma_f16 v12, v84, v10, -v12
	v_mul_f16_e32 v10, v13, v10
	v_fmac_f16_e32 v10, v84, v0
	v_pack_b32_f16 v0, v1, v11
	v_lshrrev_b32_e32 v11, 16, v82
	s_delay_alu instid0(VALU_DEP_3)
	v_pack_b32_f16 v1, v10, v12
	v_lshrrev_b32_e32 v10, 16, v100
	ds_store_2addr_b32 v133, v0, v1 offset0:80 offset1:224
	v_add_co_u32 v0, vcc_lo, v2, s2
	global_load_b32 v2, v[2:3], off
	s_wait_alu 0xfffd
	v_add_co_ci_u32_e32 v1, vcc_lo, s3, v3, vcc_lo
	v_lshrrev_b32_e32 v3, 16, v4
	v_mul_f16_e32 v5, v10, v4
	s_delay_alu instid0(VALU_DEP_1) | instskip(SKIP_1) | instid1(VALU_DEP_1)
	v_fma_f16 v5, v100, v3, -v5
	v_mul_f16_e32 v3, v10, v3
	v_fmac_f16_e32 v3, v100, v4
	s_wait_loadcnt 0x0
	v_lshrrev_b32_e32 v4, 16, v2
	v_mul_f16_e32 v10, v11, v2
	s_delay_alu instid0(VALU_DEP_1) | instskip(SKIP_2) | instid1(VALU_DEP_2)
	v_fma_f16 v10, v82, v4, -v10
	v_mul_f16_e32 v4, v11, v4
	v_lshrrev_b32_e32 v11, 16, v93
	v_fmac_f16_e32 v4, v82, v2
	v_pack_b32_f16 v2, v3, v5
	s_delay_alu instid0(VALU_DEP_2)
	v_pack_b32_f16 v3, v4, v10
	global_load_b32 v4, v[6:7], off
	v_lshrrev_b32_e32 v6, 16, v99
	v_lshrrev_b32_e32 v7, 16, v85
	;; [unrolled: 1-line block ×3, first 2 shown]
	ds_store_2addr_b32 v134, v2, v3 offset0:16 offset1:160
	v_add_co_u32 v2, vcc_lo, v0, s8
	global_load_b32 v0, v[0:1], off
	s_wait_alu 0xfffd
	v_add_co_ci_u32_e32 v3, vcc_lo, s9, v1, vcc_lo
	s_wait_loadcnt 0x1
	v_lshrrev_b32_e32 v1, 16, v4
	v_mul_f16_e32 v5, v6, v4
	s_delay_alu instid0(VALU_DEP_1) | instskip(SKIP_3) | instid1(VALU_DEP_2)
	v_fma_f16 v5, v99, v1, -v5
	v_mul_f16_e32 v1, v6, v1
	s_wait_loadcnt 0x0
	v_mul_f16_e32 v6, v7, v0
	v_fmac_f16_e32 v1, v99, v4
	v_lshrrev_b32_e32 v4, 16, v0
	s_delay_alu instid0(VALU_DEP_1) | instskip(SKIP_2) | instid1(VALU_DEP_2)
	v_fma_f16 v6, v85, v4, -v6
	v_mul_f16_e32 v4, v7, v4
	v_lshrrev_b32_e32 v7, 16, v81
	v_fmac_f16_e32 v4, v85, v0
	v_pack_b32_f16 v0, v1, v5
	s_delay_alu instid0(VALU_DEP_2)
	v_pack_b32_f16 v1, v4, v6
	global_load_b32 v4, v[8:9], off
	v_lshrrev_b32_e32 v6, 16, v89
	v_lshrrev_b32_e32 v8, 16, v90
	v_lshrrev_b32_e32 v9, 16, v86
	ds_store_2addr_b32 v135, v0, v1 offset0:80 offset1:224
	v_add_co_u32 v0, vcc_lo, v2, s2
	global_load_b32 v2, v[2:3], off
	s_wait_alu 0xfffd
	v_add_co_ci_u32_e32 v1, vcc_lo, s3, v3, vcc_lo
	s_wait_loadcnt 0x1
	v_lshrrev_b32_e32 v3, 16, v4
	v_mul_f16_e32 v5, v6, v4
	s_delay_alu instid0(VALU_DEP_1) | instskip(SKIP_3) | instid1(VALU_DEP_2)
	v_fma_f16 v5, v89, v3, -v5
	v_mul_f16_e32 v3, v6, v3
	s_wait_loadcnt 0x0
	v_mul_f16_e32 v6, v7, v2
	v_fmac_f16_e32 v3, v89, v4
	v_lshrrev_b32_e32 v4, 16, v2
	s_delay_alu instid0(VALU_DEP_1) | instskip(SKIP_2) | instid1(VALU_DEP_2)
	v_fma_f16 v6, v81, v4, -v6
	v_mul_f16_e32 v4, v7, v4
	v_lshrrev_b32_e32 v7, 16, v83
	v_fmac_f16_e32 v4, v81, v2
	v_pack_b32_f16 v2, v3, v5
	s_delay_alu instid0(VALU_DEP_2)
	v_pack_b32_f16 v3, v4, v6
	global_load_b32 v4, v[0:1], off
	ds_store_2addr_b32 v96, v2, v3 offset0:32 offset1:176
	v_add_co_u32 v2, vcc_lo, v0, s2
	s_wait_alu 0xfffd
	v_add_co_ci_u32_e32 v3, vcc_lo, s3, v1, vcc_lo
	s_delay_alu instid0(VALU_DEP_2)
	v_add_co_u32 v0, vcc_lo, v2, s2
	global_load_b32 v5, v[2:3], off
	s_wait_alu 0xfffd
	v_add_co_ci_u32_e32 v1, vcc_lo, s3, v3, vcc_lo
	v_add_co_u32 v2, vcc_lo, v0, s2
	global_load_b32 v6, v[0:1], off
	s_wait_alu 0xfffd
	v_add_co_ci_u32_e32 v3, vcc_lo, s3, v1, vcc_lo
	v_add_co_u32 v0, vcc_lo, v2, s2
	s_wait_alu 0xfffd
	s_delay_alu instid0(VALU_DEP_2)
	v_add_co_ci_u32_e32 v1, vcc_lo, s3, v3, vcc_lo
	global_load_b32 v2, v[2:3], off
	global_load_b32 v0, v[0:1], off
	v_cmp_gt_u16_e32 vcc_lo, 0x48, v37
	s_wait_loadcnt 0x4
	v_lshrrev_b32_e32 v1, 16, v4
	v_mul_f16_e32 v3, v7, v4
	s_delay_alu instid0(VALU_DEP_1) | instskip(SKIP_1) | instid1(VALU_DEP_1)
	v_fma_f16 v3, v83, v1, -v3
	v_mul_f16_e32 v1, v7, v1
	v_fmac_f16_e32 v1, v83, v4
	s_wait_loadcnt 0x3
	v_lshrrev_b32_e32 v4, 16, v5
	v_mul_f16_e32 v7, v8, v5
	s_delay_alu instid0(VALU_DEP_1) | instskip(SKIP_3) | instid1(VALU_DEP_2)
	v_fma_f16 v7, v90, v4, -v7
	v_mul_f16_e32 v4, v8, v4
	s_wait_loadcnt 0x2
	v_mul_f16_e32 v8, v9, v6
	v_fmac_f16_e32 v4, v90, v5
	v_lshrrev_b32_e32 v5, 16, v6
	s_delay_alu instid0(VALU_DEP_1) | instskip(SKIP_3) | instid1(VALU_DEP_2)
	v_fma_f16 v8, v86, v5, -v8
	v_mul_f16_e32 v5, v9, v5
	s_wait_loadcnt 0x1
	v_mul_f16_e32 v9, v10, v2
	v_fmac_f16_e32 v5, v86, v6
	v_lshrrev_b32_e32 v6, 16, v2
	;; [unrolled: 7-line block ×3, first 2 shown]
	s_delay_alu instid0(VALU_DEP_1) | instskip(SKIP_1) | instid1(VALU_DEP_1)
	v_fma_f16 v10, v93, v2, -v10
	v_mul_f16_e32 v2, v11, v2
	v_fmac_f16_e32 v2, v93, v0
	v_pack_b32_f16 v0, v1, v3
	v_pack_b32_f16 v1, v4, v7
	;; [unrolled: 1-line block ×5, first 2 shown]
	ds_store_b32 v117, v0 offset:4032
	ds_store_b32 v117, v1 offset:6336
	ds_store_b32 v117, v3 offset:8640
	ds_store_b32 v117, v4 offset:10944
	ds_store_b32 v117, v2 offset:13248
	s_load_b128 s[8:11], s[10:11], 0x0
	global_wb scope:SCOPE_SE
	s_wait_dscnt 0x0
	s_wait_kmcnt 0x0
	s_barrier_signal -1
	s_barrier_wait -1
	global_inv scope:SCOPE_SE
	ds_load_2addr_b32 v[4:5], v128 offset1:144
	ds_load_2addr_b32 v[0:1], v126 offset1:144
	;; [unrolled: 1-line block ×3, first 2 shown]
	s_wait_dscnt 0x1
	v_add_f16_e32 v6, v4, v0
	v_lshrrev_b32_e32 v7, 16, v0
	s_wait_dscnt 0x0
	v_lshrrev_b32_e32 v18, 16, v2
	s_delay_alu instid0(VALU_DEP_3) | instskip(SKIP_2) | instid1(VALU_DEP_2)
	v_fma_f16 v16, -0.5, v6, v2
	v_lshrrev_b32_e32 v6, 16, v4
	v_add_f16_e32 v2, v2, v4
	v_sub_f16_e32 v8, v6, v7
	s_delay_alu instid0(VALU_DEP_1) | instskip(SKIP_3) | instid1(VALU_DEP_2)
	v_fmamk_f16 v17, v8, 0x3aee, v16
	v_fmac_f16_e32 v16, 0xbaee, v8
	v_add_f16_e32 v8, v18, v6
	v_add_f16_e32 v6, v6, v7
	;; [unrolled: 1-line block ×3, first 2 shown]
	s_delay_alu instid0(VALU_DEP_2)
	v_fmac_f16_e32 v18, -0.5, v6
	ds_load_2addr_b32 v[6:7], v127 offset0:64 offset1:208
	ds_load_2addr_b32 v[8:9], v123 offset0:64 offset1:208
	;; [unrolled: 1-line block ×3, first 2 shown]
	s_wait_dscnt 0x2
	v_lshrrev_b32_e32 v13, 16, v6
	s_wait_dscnt 0x1
	v_add_f16_e32 v12, v6, v8
	v_lshrrev_b32_e32 v15, 16, v8
	s_wait_dscnt 0x0
	s_delay_alu instid0(VALU_DEP_2) | instskip(NEXT) | instid1(VALU_DEP_2)
	v_fma_f16 v12, -0.5, v12, v10
	v_sub_f16_e32 v19, v13, v15
	s_delay_alu instid0(VALU_DEP_1) | instskip(SKIP_2) | instid1(VALU_DEP_2)
	v_fmamk_f16 v20, v19, 0x3aee, v12
	v_fmac_f16_e32 v12, 0xbaee, v19
	v_lshrrev_b32_e32 v19, 16, v10
	v_mul_f16_e32 v23, -0.5, v12
	s_delay_alu instid0(VALU_DEP_2) | instskip(SKIP_1) | instid1(VALU_DEP_2)
	v_add_f16_e32 v21, v19, v13
	v_add_f16_e32 v13, v13, v15
	;; [unrolled: 1-line block ×3, first 2 shown]
	s_delay_alu instid0(VALU_DEP_2) | instskip(SKIP_4) | instid1(VALU_DEP_4)
	v_fmac_f16_e32 v19, -0.5, v13
	v_sub_f16_e32 v13, v4, v0
	v_add_f16_e32 v0, v2, v0
	v_add_f16_e32 v2, v10, v6
	;; [unrolled: 1-line block ×3, first 2 shown]
	v_fmamk_f16 v21, v13, 0xbaee, v18
	v_fmac_f16_e32 v18, 0x3aee, v13
	v_sub_f16_e32 v13, v6, v8
	v_add_f16_e32 v2, v2, v8
	v_sub_f16_e32 v6, v14, v15
	v_add_f16_e32 v8, v3, v5
	s_delay_alu instid0(VALU_DEP_4)
	v_fmamk_f16 v22, v13, 0xbaee, v19
	v_fmac_f16_e32 v19, 0x3aee, v13
	v_sub_f16_e32 v4, v0, v2
	v_add_f16_e32 v0, v0, v2
	v_add_f16_e32 v2, v14, v15
	;; [unrolled: 1-line block ×3, first 2 shown]
	v_fmac_f16_e32 v23, 0x3aee, v19
	v_mul_f16_e32 v19, -0.5, v19
	v_pack_b32_f16 v13, v4, v6
	v_pack_b32_f16 v14, v0, v2
	s_delay_alu instid0(VALU_DEP_4) | instskip(NEXT) | instid1(VALU_DEP_4)
	v_add_f16_e32 v4, v16, v23
	v_fmac_f16_e32 v19, 0xbaee, v12
	s_delay_alu instid0(VALU_DEP_1) | instskip(NEXT) | instid1(VALU_DEP_1)
	v_add_f16_e32 v6, v18, v19
	v_pack_b32_f16 v12, v4, v6
	v_mul_f16_e32 v4, 0xbaee, v20
	v_mul_f16_e32 v6, 0x3aee, v22
	s_delay_alu instid0(VALU_DEP_2) | instskip(NEXT) | instid1(VALU_DEP_2)
	v_fmac_f16_e32 v4, 0.5, v22
	v_fmac_f16_e32 v6, 0.5, v20
	s_delay_alu instid0(VALU_DEP_2) | instskip(NEXT) | instid1(VALU_DEP_2)
	v_add_f16_e32 v0, v21, v4
	v_add_f16_e32 v2, v17, v6
	v_sub_f16_e32 v6, v17, v6
	s_delay_alu instid0(VALU_DEP_2)
	v_pack_b32_f16 v15, v2, v0
	v_sub_f16_e32 v0, v16, v23
	v_sub_f16_e32 v2, v21, v4
	;; [unrolled: 1-line block ×3, first 2 shown]
	ds_load_2addr_b32 v[18:19], v96 offset0:32 offset1:176
	ds_load_2addr_b32 v[20:21], v97 offset0:32 offset1:176
	;; [unrolled: 1-line block ×6, first 2 shown]
	global_wb scope:SCOPE_SE
	s_wait_dscnt 0x0
	s_barrier_signal -1
	v_pack_b32_f16 v16, v6, v2
	v_pack_b32_f16 v17, v0, v4
	v_mul_lo_u16 v0, v37, 6
	v_lshrrev_b32_e32 v2, 16, v7
	v_add_f16_e32 v4, v7, v9
	v_sub_f16_e32 v6, v7, v9
	s_barrier_wait -1
	v_and_b32_e32 v0, 0xffff, v0
	global_inv scope:SCOPE_SE
	v_lshlrev_b32_e32 v136, 2, v0
	v_add_f16_e32 v0, v11, v7
	ds_store_2addr_b64 v136, v[14:15], v[12:13] offset1:1
	ds_store_b64 v136, v[16:17] offset:16
	v_add_f16_e32 v7, v0, v9
	v_lshrrev_b32_e32 v0, 16, v9
	v_lshrrev_b32_e32 v12, 16, v11
	v_fmac_f16_e32 v11, -0.5, v4
	v_lshrrev_b32_e32 v9, 16, v5
	v_sub_f16_e32 v5, v5, v1
	v_add_f16_e32 v13, v2, v0
	v_add_f16_e32 v14, v12, v2
	v_sub_f16_e32 v2, v2, v0
	v_lshrrev_b32_e32 v1, 16, v1
	s_delay_alu instid0(VALU_DEP_4) | instskip(SKIP_2) | instid1(VALU_DEP_3)
	v_fmac_f16_e32 v12, -0.5, v13
	v_lshrrev_b32_e32 v13, 16, v3
	v_fmac_f16_e32 v3, -0.5, v10
	v_fmamk_f16 v4, v6, 0xbaee, v12
	v_fmac_f16_e32 v12, 0x3aee, v6
	v_fmamk_f16 v6, v2, 0x3aee, v11
	v_fmac_f16_e32 v11, 0xbaee, v2
	s_delay_alu instid0(VALU_DEP_3) | instskip(NEXT) | instid1(VALU_DEP_2)
	v_mul_f16_e32 v10, -0.5, v12
	v_mul_f16_e32 v2, -0.5, v11
	s_delay_alu instid0(VALU_DEP_2) | instskip(SKIP_1) | instid1(VALU_DEP_3)
	v_fmac_f16_e32 v10, 0xbaee, v11
	v_sub_f16_e32 v11, v9, v1
	v_fmac_f16_e32 v2, 0x3aee, v12
	s_delay_alu instid0(VALU_DEP_2) | instskip(SKIP_1) | instid1(VALU_DEP_1)
	v_fmamk_f16 v15, v11, 0x3aee, v3
	v_fmac_f16_e32 v3, 0xbaee, v11
	v_add_f16_e32 v11, v3, v2
	v_sub_f16_e32 v12, v3, v2
	v_add_f16_e32 v2, v9, v1
	v_add_f16_e32 v3, v13, v9
	s_delay_alu instid0(VALU_DEP_2) | instskip(NEXT) | instid1(VALU_DEP_2)
	v_fmac_f16_e32 v13, -0.5, v2
	v_add_f16_e32 v2, v3, v1
	v_add_f16_e32 v3, v14, v0
	v_sub_f16_e32 v0, v8, v7
	s_delay_alu instid0(VALU_DEP_4)
	v_fmamk_f16 v9, v5, 0xbaee, v13
	v_fmac_f16_e32 v13, 0x3aee, v5
	v_add_f16_e32 v5, v8, v7
	v_mul_f16_e32 v7, 0xbaee, v6
	v_sub_f16_e32 v1, v2, v3
	v_add_f16_e32 v2, v2, v3
	v_lshrrev_b32_e32 v8, 16, v18
	s_delay_alu instid0(VALU_DEP_4) | instskip(SKIP_1) | instid1(VALU_DEP_4)
	v_fmac_f16_e32 v7, 0.5, v4
	v_mul_f16_e32 v4, 0x3aee, v4
	v_pack_b32_f16 v2, v5, v2
	v_pack_b32_f16 v1, v0, v1
	v_add_f16_e32 v0, v13, v10
	v_add_f16_e32 v3, v9, v7
	v_fmac_f16_e32 v4, 0.5, v6
	v_sub_f16_e32 v6, v9, v7
	s_delay_alu instid0(VALU_DEP_4) | instskip(NEXT) | instid1(VALU_DEP_3)
	v_pack_b32_f16 v0, v11, v0
	v_add_f16_e32 v5, v15, v4
	v_sub_f16_e32 v4, v15, v4
	s_delay_alu instid0(VALU_DEP_2) | instskip(NEXT) | instid1(VALU_DEP_2)
	v_pack_b32_f16 v3, v5, v3
	v_pack_b32_f16 v4, v4, v6
	v_mul_u32_u24_e32 v6, 6, v38
	v_sub_f16_e32 v5, v13, v10
	s_delay_alu instid0(VALU_DEP_2) | instskip(NEXT) | instid1(VALU_DEP_2)
	v_lshlrev_b32_e32 v137, 2, v6
	v_pack_b32_f16 v5, v12, v5
	ds_store_2addr_b64 v137, v[2:3], v[0:1] offset1:1
	ds_store_b64 v137, v[4:5] offset:16
	v_add_f16_e32 v0, v20, v22
	v_lshrrev_b32_e32 v1, 16, v22
	v_lshrrev_b32_e32 v3, 16, v28
	;; [unrolled: 1-line block ×3, first 2 shown]
	s_delay_alu instid0(VALU_DEP_4) | instskip(SKIP_1) | instid1(VALU_DEP_1)
	v_fma_f16 v6, -0.5, v0, v18
	v_lshrrev_b32_e32 v0, 16, v20
	v_sub_f16_e32 v2, v0, v1
	s_delay_alu instid0(VALU_DEP_1) | instskip(SKIP_3) | instid1(VALU_DEP_2)
	v_fmamk_f16 v7, v2, 0x3aee, v6
	v_fmac_f16_e32 v6, 0xbaee, v2
	v_add_f16_e32 v2, v8, v0
	v_add_f16_e32 v0, v0, v1
	;; [unrolled: 1-line block ×3, first 2 shown]
	s_delay_alu instid0(VALU_DEP_2) | instskip(SKIP_2) | instid1(VALU_DEP_2)
	v_fmac_f16_e32 v8, -0.5, v0
	v_add_f16_e32 v0, v26, v28
	v_lshrrev_b32_e32 v1, 16, v26
	v_fma_f16 v0, -0.5, v0, v24
	s_delay_alu instid0(VALU_DEP_2) | instskip(NEXT) | instid1(VALU_DEP_1)
	v_sub_f16_e32 v9, v1, v3
	v_fmamk_f16 v10, v9, 0x3aee, v0
	v_fmac_f16_e32 v0, 0xbaee, v9
	v_lshrrev_b32_e32 v9, 16, v24
	s_delay_alu instid0(VALU_DEP_2) | instskip(NEXT) | instid1(VALU_DEP_2)
	v_mul_f16_e32 v13, -0.5, v0
	v_add_f16_e32 v11, v9, v1
	v_add_f16_e32 v1, v1, v3
	s_delay_alu instid0(VALU_DEP_2) | instskip(NEXT) | instid1(VALU_DEP_2)
	v_add_f16_e32 v3, v11, v3
	v_fmac_f16_e32 v9, -0.5, v1
	v_sub_f16_e32 v1, v20, v22
	s_delay_alu instid0(VALU_DEP_1) | instskip(SKIP_2) | instid1(VALU_DEP_1)
	v_fmamk_f16 v11, v1, 0xbaee, v8
	v_fmac_f16_e32 v8, 0x3aee, v1
	v_sub_f16_e32 v1, v26, v28
	v_fmamk_f16 v12, v1, 0xbaee, v9
	v_fmac_f16_e32 v9, 0x3aee, v1
	v_sub_f16_e32 v1, v2, v3
	v_add_f16_e32 v2, v2, v3
	s_delay_alu instid0(VALU_DEP_3) | instskip(SKIP_1) | instid1(VALU_DEP_1)
	v_fmac_f16_e32 v13, 0x3aee, v9
	v_mul_f16_e32 v9, -0.5, v9
	v_fmac_f16_e32 v9, 0xbaee, v0
	v_add_f16_e32 v0, v18, v20
	v_and_b32_e32 v18, 0xffff, v38
	s_delay_alu instid0(VALU_DEP_3) | instskip(NEXT) | instid1(VALU_DEP_3)
	v_add_f16_e32 v16, v8, v9
	v_add_f16_e32 v14, v0, v22
	v_add_f16_e32 v0, v24, v26
	v_sub_f16_e32 v8, v8, v9
	s_delay_alu instid0(VALU_DEP_2) | instskip(NEXT) | instid1(VALU_DEP_1)
	v_add_f16_e32 v15, v0, v28
	v_sub_f16_e32 v0, v14, v15
	v_add_f16_e32 v14, v14, v15
	v_mul_f16_e32 v15, 0xbaee, v10
	s_delay_alu instid0(VALU_DEP_3) | instskip(SKIP_1) | instid1(VALU_DEP_3)
	v_pack_b32_f16 v1, v0, v1
	v_add_f16_e32 v0, v6, v13
	v_fmac_f16_e32 v15, 0.5, v12
	v_mul_f16_e32 v12, 0x3aee, v12
	v_pack_b32_f16 v2, v14, v2
	v_sub_f16_e32 v6, v6, v13
	v_pack_b32_f16 v0, v0, v16
	v_add_co_u32 v16, null, 0x120, v129
	v_fmac_f16_e32 v12, 0.5, v10
	v_add_f16_e32 v3, v11, v15
	v_lshrrev_b32_e32 v14, 16, v19
	s_delay_alu instid0(VALU_DEP_4)
	v_mul_u32_u24_e32 v4, 6, v16
	v_and_b32_e32 v63, 0xffff, v16
	v_add_f16_e32 v10, v7, v12
	v_sub_f16_e32 v9, v7, v12
	v_pack_b32_f16 v7, v6, v8
	v_lshlrev_b32_e32 v142, 2, v4
	v_add_f16_e32 v8, v19, v21
	v_pack_b32_f16 v3, v10, v3
	v_sub_f16_e32 v10, v11, v15
	v_lshrrev_b32_e32 v11, 16, v25
	s_delay_alu instid0(VALU_DEP_4) | instskip(NEXT) | instid1(VALU_DEP_3)
	v_add_f16_e32 v8, v8, v23
	v_pack_b32_f16 v6, v9, v10
	ds_store_2addr_b64 v142, v[2:3], v[0:1] offset1:1
	v_add_f16_e32 v0, v25, v27
	v_lshrrev_b32_e32 v2, 16, v27
	v_add_f16_e32 v1, v27, v29
	ds_store_b64 v142, v[6:7] offset:16
	v_sub_f16_e32 v3, v27, v29
	v_add_f16_e32 v4, v0, v29
	v_lshrrev_b32_e32 v0, 16, v29
	v_add_f16_e32 v9, v21, v23
	v_add_f16_e32 v13, v11, v2
	v_fmac_f16_e32 v25, -0.5, v1
	v_sub_f16_e32 v10, v21, v23
	v_add_f16_e32 v12, v2, v0
	v_sub_f16_e32 v1, v2, v0
	v_fmac_f16_e32 v19, -0.5, v9
	s_delay_alu instid0(VALU_DEP_3) | instskip(SKIP_1) | instid1(VALU_DEP_4)
	v_fmac_f16_e32 v11, -0.5, v12
	v_lshrrev_b32_e32 v12, 16, v23
	v_fmamk_f16 v2, v1, 0x3aee, v25
	v_fmac_f16_e32 v25, 0xbaee, v1
	s_delay_alu instid0(VALU_DEP_4) | instskip(SKIP_2) | instid1(VALU_DEP_4)
	v_fmamk_f16 v9, v3, 0xbaee, v11
	v_fmac_f16_e32 v11, 0x3aee, v3
	v_add_f16_e32 v1, v5, v12
	v_mul_f16_e32 v17, -0.5, v25
	v_add_f16_e32 v3, v14, v5
	s_delay_alu instid0(VALU_DEP_4) | instskip(NEXT) | instid1(VALU_DEP_4)
	v_mul_f16_e32 v15, -0.5, v11
	v_fmac_f16_e32 v14, -0.5, v1
	v_sub_f16_e32 v1, v5, v12
	v_fmac_f16_e32 v17, 0x3aee, v11
	v_add_f16_e32 v3, v3, v12
	v_fmac_f16_e32 v15, 0xbaee, v25
	v_fmamk_f16 v11, v10, 0xbaee, v14
	v_fmamk_f16 v5, v1, 0x3aee, v19
	v_fmac_f16_e32 v19, 0xbaee, v1
	v_fmac_f16_e32 v14, 0x3aee, v10
	v_add_f16_e32 v10, v13, v0
	v_mul_f16_e32 v13, 0xbaee, v2
	s_delay_alu instid0(VALU_DEP_4) | instskip(NEXT) | instid1(VALU_DEP_4)
	v_add_f16_e32 v0, v19, v17
	v_add_f16_e32 v1, v14, v15
	s_delay_alu instid0(VALU_DEP_4) | instskip(NEXT) | instid1(VALU_DEP_4)
	v_sub_f16_e32 v12, v3, v10
	v_fmac_f16_e32 v13, 0.5, v9
	s_delay_alu instid0(VALU_DEP_3) | instskip(SKIP_1) | instid1(VALU_DEP_3)
	v_pack_b32_f16 v0, v0, v1
	v_sub_f16_e32 v1, v8, v4
	v_sub_f16_e32 v7, v11, v13
	s_delay_alu instid0(VALU_DEP_2) | instskip(SKIP_1) | instid1(VALU_DEP_1)
	v_pack_b32_f16 v1, v1, v12
	v_mul_f16_e32 v12, 0x3aee, v9
	v_fmac_f16_e32 v12, 0.5, v2
	v_add_f16_e32 v2, v8, v4
	v_add_f16_e32 v4, v3, v10
	;; [unrolled: 1-line block ×3, first 2 shown]
	s_delay_alu instid0(VALU_DEP_4) | instskip(SKIP_1) | instid1(VALU_DEP_4)
	v_add_f16_e32 v3, v5, v12
	v_sub_f16_e32 v6, v5, v12
	v_pack_b32_f16 v2, v2, v4
	v_sub_f16_e32 v4, v19, v17
	v_sub_f16_e32 v5, v14, v15
	v_pack_b32_f16 v3, v3, v8
	v_and_b32_e32 v17, 0xff, v37
	s_delay_alu instid0(VALU_DEP_3) | instskip(SKIP_2) | instid1(VALU_DEP_1)
	v_pack_b32_f16 v5, v4, v5
	v_pack_b32_f16 v4, v6, v7
	v_mul_u32_u24_e32 v6, 6, v32
	v_lshlrev_b32_e32 v143, 2, v6
	ds_store_2addr_b64 v143, v[2:3], v[0:1] offset1:1
	ds_store_b64 v143, v[4:5] offset:16
	v_mul_lo_u16 v0, 0xab, v17
	v_mul_u32_u24_e32 v1, 0xaaab, v18
	global_wb scope:SCOPE_SE
	s_wait_dscnt 0x0
	s_barrier_signal -1
	s_barrier_wait -1
	v_lshrrev_b16 v0, 10, v0
	v_lshrrev_b32_e32 v19, 18, v1
	global_inv scope:SCOPE_SE
	ds_load_2addr_b32 v[8:9], v130 offset0:64 offset1:208
	v_mul_lo_u16 v1, v0, 6
	v_mul_lo_u16 v2, v19, 6
	v_and_b32_e32 v0, 0xffff, v0
	s_delay_alu instid0(VALU_DEP_3) | instskip(NEXT) | instid1(VALU_DEP_3)
	v_sub_nc_u16 v1, v37, v1
	v_sub_nc_u16 v20, v38, v2
	s_delay_alu instid0(VALU_DEP_3) | instskip(NEXT) | instid1(VALU_DEP_3)
	v_mul_u32_u24_e32 v3, 36, v0
	v_and_b32_e32 v2, 0xff, v1
	s_delay_alu instid0(VALU_DEP_3) | instskip(NEXT) | instid1(VALU_DEP_2)
	v_mul_lo_u16 v1, v20, 20
	v_add_lshl_u32 v138, v3, v2, 2
	s_delay_alu instid0(VALU_DEP_2)
	v_and_b32_e32 v1, 0xffff, v1
	v_mad_co_u64_u32 v[2:3], null, v2, 20, s[6:7]
	s_clause 0x1
	global_load_b32 v154, v[2:3], off offset:16
	global_load_b128 v[69:72], v[2:3], off
	v_add_co_u32 v0, s2, s6, v1
	s_wait_alu 0xf1ff
	v_add_co_ci_u32_e64 v1, null, s7, 0, s2
	s_clause 0x1
	global_load_b32 v139, v[0:1], off offset:16
	global_load_b128 v[166:169], v[0:1], off
	s_wait_dscnt 0x0
	v_lshrrev_b32_e32 v4, 16, v8
	v_lshrrev_b32_e32 v3, 16, v9
	s_wait_loadcnt 0x3
	v_lshrrev_b32_e32 v156, 16, v154
	s_wait_loadcnt 0x2
	v_lshrrev_b32_e32 v14, 16, v69
	v_lshrrev_b32_e32 v15, 16, v70
	;; [unrolled: 1-line block ×4, first 2 shown]
	s_delay_alu instid0(VALU_DEP_4)
	v_mul_f16_e32 v2, v4, v14
	v_mul_f16_e32 v1, v8, v14
	s_wait_loadcnt 0x1
	v_lshrrev_b32_e32 v141, 16, v139
	s_wait_loadcnt 0x0
	v_lshrrev_b32_e32 v159, 16, v166
	v_lshrrev_b32_e32 v162, 16, v167
	v_fma_f16 v2, v8, v69, -v2
	v_lshrrev_b32_e32 v163, 16, v168
	v_lshrrev_b32_e32 v164, 16, v169
	v_mul_f16_e64 v0, v3, v159
	v_mul_f16_e64 v5, v9, v159
	v_fmac_f16_e32 v1, v4, v69
	s_delay_alu instid0(VALU_DEP_3)
	v_fma_f16 v0, v9, v166, -v0
	ds_load_2addr_b32 v[8:9], v128 offset1:144
	v_fmac_f16_e64 v5, v3, v166
	s_wait_dscnt 0x0
	v_lshrrev_b32_e32 v6, 16, v8
	v_lshrrev_b32_e32 v10, 16, v9
	v_mul_f16_e64 v13, v9, v162
	s_delay_alu instid0(VALU_DEP_3) | instskip(NEXT) | instid1(VALU_DEP_3)
	v_mul_f16_e32 v7, v6, v15
	v_mul_f16_e64 v11, v10, v162
	s_delay_alu instid0(VALU_DEP_3) | instskip(NEXT) | instid1(VALU_DEP_3)
	v_fmac_f16_e64 v13, v10, v167
	v_fma_f16 v7, v8, v70, -v7
	s_delay_alu instid0(VALU_DEP_3)
	v_fma_f16 v12, v9, v167, -v11
	v_mul_f16_e32 v11, v8, v15
	ds_load_2addr_b32 v[8:9], v127 offset0:64 offset1:208
	v_fmac_f16_e32 v11, v6, v70
	s_wait_dscnt 0x0
	v_lshrrev_b32_e32 v21, 16, v8
	v_lshrrev_b32_e32 v23, 16, v9
	v_mul_f16_e32 v25, v8, v79
	v_mul_f16_e64 v26, v9, v163
	s_delay_alu instid0(VALU_DEP_4) | instskip(NEXT) | instid1(VALU_DEP_4)
	v_mul_f16_e32 v22, v21, v79
	v_mul_f16_e64 v24, v23, v163
	s_delay_alu instid0(VALU_DEP_4) | instskip(NEXT) | instid1(VALU_DEP_4)
	v_fmac_f16_e32 v25, v21, v71
	v_fmac_f16_e64 v26, v23, v168
	s_delay_alu instid0(VALU_DEP_4) | instskip(NEXT) | instid1(VALU_DEP_4)
	v_fma_f16 v22, v8, v71, -v22
	v_fma_f16 v24, v9, v168, -v24
	ds_load_2addr_b32 v[8:9], v126 offset1:144
	v_add_f16_e32 v42, v5, v26
	v_add_f16_e32 v23, v0, v24
	s_wait_dscnt 0x0
	v_lshrrev_b32_e32 v27, 16, v8
	v_lshrrev_b32_e32 v29, 16, v9
	v_mul_f16_e64 v39, v9, v164
	s_delay_alu instid0(VALU_DEP_3) | instskip(NEXT) | instid1(VALU_DEP_3)
	v_mul_f16_e32 v28, v27, v80
	v_mul_f16_e64 v30, v29, v164
	s_delay_alu instid0(VALU_DEP_3) | instskip(NEXT) | instid1(VALU_DEP_3)
	v_fmac_f16_e64 v39, v29, v169
	v_fma_f16 v28, v8, v72, -v28
	s_delay_alu instid0(VALU_DEP_3)
	v_fma_f16 v31, v9, v169, -v30
	v_mul_f16_e32 v30, v8, v80
	ds_load_2addr_b32 v[8:9], v123 offset0:64 offset1:208
	v_add_f16_e32 v10, v7, v28
	v_add_f16_e32 v3, v12, v31
	v_fmac_f16_e32 v30, v27, v72
	s_delay_alu instid0(VALU_DEP_1) | instskip(SKIP_4) | instid1(VALU_DEP_3)
	v_sub_f16_e32 v50, v11, v30
	s_wait_dscnt 0x0
	v_lshrrev_b32_e32 v33, 16, v8
	v_lshrrev_b32_e32 v35, 16, v9
	v_mul_f16_e64 v41, v9, v141
	v_mul_f16_e64 v34, v33, v156
	s_delay_alu instid0(VALU_DEP_3) | instskip(NEXT) | instid1(VALU_DEP_3)
	v_mul_f16_e64 v36, v35, v141
	v_fmac_f16_e64 v41, v35, v139
	s_delay_alu instid0(VALU_DEP_3) | instskip(NEXT) | instid1(VALU_DEP_3)
	v_fma_f16 v34, v8, v154, -v34
	v_fma_f16 v40, v9, v139, -v36
	v_mul_f16_e64 v36, v8, v156
	ds_load_2addr_b32 v[8:9], v117 offset1:144
	v_sub_f16_e32 v52, v22, v34
	v_fmac_f16_e64 v36, v33, v154
	s_delay_alu instid0(VALU_DEP_1)
	v_sub_f16_e32 v54, v25, v36
	s_wait_dscnt 0x0
	v_lshrrev_b32_e32 v4, 16, v9
	v_add_f16_e32 v6, v9, v12
	v_fmac_f16_e32 v9, -0.5, v3
	v_add_f16_e32 v3, v24, v40
	v_fma_f16 v46, -0.5, v10, v8
	v_lshrrev_b32_e32 v48, 16, v8
	v_add_f16_e32 v8, v8, v7
	v_add_f16_e32 v10, v22, v34
	v_fmac_f16_e32 v0, -0.5, v3
	v_add_f16_e32 v3, v26, v41
	v_sub_f16_e32 v7, v7, v28
	v_add_f16_e32 v49, v8, v28
	v_add_f16_e32 v8, v48, v11
	v_fmamk_f16 v59, v50, 0x3aee, v46
	v_fmac_f16_e32 v5, -0.5, v3
	v_sub_f16_e32 v3, v13, v39
	v_fmac_f16_e32 v46, 0xbaee, v50
	v_add_f16_e32 v51, v8, v30
	v_add_f16_e32 v8, v2, v22
	v_fmac_f16_e32 v2, -0.5, v10
	v_fmamk_f16 v43, v3, 0x3aee, v9
	v_fmac_f16_e32 v9, 0xbaee, v3
	v_sub_f16_e32 v3, v26, v41
	v_add_f16_e32 v53, v8, v34
	v_add_f16_e32 v8, v1, v25
	;; [unrolled: 1-line block ×3, first 2 shown]
	s_delay_alu instid0(VALU_DEP_4)
	v_fmamk_f16 v44, v3, 0x3aee, v0
	v_fmac_f16_e32 v0, 0xbaee, v3
	v_sub_f16_e32 v3, v24, v40
	v_add_f16_e32 v55, v8, v36
	v_add_f16_e32 v8, v49, v53
	v_and_b32_e32 v24, 0xffff, v32
	s_delay_alu instid0(VALU_DEP_4) | instskip(SKIP_2) | instid1(VALU_DEP_1)
	v_fmamk_f16 v45, v3, 0xbaee, v5
	v_fmac_f16_e32 v5, 0x3aee, v3
	v_mul_f16_e32 v3, -0.5, v0
	v_fmac_f16_e32 v3, 0x3aee, v5
	v_mul_f16_e32 v5, -0.5, v5
	s_delay_alu instid0(VALU_DEP_2) | instskip(SKIP_4) | instid1(VALU_DEP_3)
	v_add_f16_e32 v47, v9, v3
	v_sub_f16_e32 v3, v9, v3
	v_add_f16_e32 v9, v11, v30
	v_add_f16_e32 v11, v25, v36
	v_fmac_f16_e32 v5, 0xbaee, v0
	v_fmac_f16_e32 v48, -0.5, v9
	s_delay_alu instid0(VALU_DEP_3) | instskip(SKIP_1) | instid1(VALU_DEP_3)
	v_fmac_f16_e32 v1, -0.5, v11
	v_add_f16_e32 v9, v51, v55
	v_fmamk_f16 v60, v7, 0xbaee, v48
	v_fmac_f16_e32 v48, 0x3aee, v7
	s_delay_alu instid0(VALU_DEP_3)
	v_pack_b32_f16 v56, v8, v9
	v_fmamk_f16 v8, v52, 0xbaee, v1
	v_fmamk_f16 v9, v54, 0x3aee, v2
	v_fmac_f16_e32 v2, 0xbaee, v54
	v_fmac_f16_e32 v1, 0x3aee, v52
	v_sub_f16_e32 v7, v49, v53
	v_mul_f16_e32 v57, 0x3aee, v8
	v_mul_f16_e32 v58, 0xbaee, v9
	s_delay_alu instid0(VALU_DEP_2) | instskip(NEXT) | instid1(VALU_DEP_2)
	v_fmac_f16_e32 v57, 0.5, v9
	v_fmac_f16_e32 v58, 0.5, v8
	s_delay_alu instid0(VALU_DEP_2) | instskip(NEXT) | instid1(VALU_DEP_2)
	v_add_f16_e32 v8, v59, v57
	v_add_f16_e32 v9, v60, v58
	s_delay_alu instid0(VALU_DEP_1) | instskip(SKIP_2) | instid1(VALU_DEP_2)
	v_pack_b32_f16 v61, v8, v9
	v_mul_u32_u24_e32 v8, 0xaaab, v24
	v_mul_u32_u24_e32 v24, 0xe38f, v24
	v_lshrrev_b32_e32 v62, 18, v8
	v_mul_u32_u24_e32 v8, 0xaaab, v63
	s_delay_alu instid0(VALU_DEP_3) | instskip(NEXT) | instid1(VALU_DEP_2)
	v_lshrrev_b32_e32 v161, 21, v24
	v_lshrrev_b32_e32 v64, 18, v8
	s_delay_alu instid0(VALU_DEP_4) | instskip(NEXT) | instid1(VALU_DEP_3)
	v_mul_lo_u16 v8, v62, 6
	v_mul_lo_u16 v24, v161, 36
	s_delay_alu instid0(VALU_DEP_2) | instskip(NEXT) | instid1(VALU_DEP_4)
	v_sub_nc_u16 v65, v32, v8
	v_mul_lo_u16 v8, v64, 6
	s_delay_alu instid0(VALU_DEP_3) | instskip(NEXT) | instid1(VALU_DEP_2)
	v_sub_nc_u16 v177, v32, v24
	v_sub_nc_u16 v66, v16, v8
	s_delay_alu instid0(VALU_DEP_4) | instskip(NEXT) | instid1(VALU_DEP_3)
	v_mul_lo_u16 v8, v65, 20
	v_mul_lo_u16 v24, v177, 20
	s_delay_alu instid0(VALU_DEP_3) | instskip(NEXT) | instid1(VALU_DEP_3)
	v_mul_lo_u16 v9, v66, 20
	v_and_b32_e32 v8, 0xffff, v8
	s_delay_alu instid0(VALU_DEP_3) | instskip(NEXT) | instid1(VALU_DEP_3)
	v_and_b32_e32 v24, 0xffff, v24
	v_and_b32_e32 v10, 0xffff, v9
	s_delay_alu instid0(VALU_DEP_3) | instskip(SKIP_2) | instid1(VALU_DEP_3)
	v_add_co_u32 v8, s2, s6, v8
	s_wait_alu 0xf1ff
	v_add_co_ci_u32_e64 v9, null, s7, 0, s2
	v_add_co_u32 v10, s2, s6, v10
	s_wait_alu 0xf1ff
	v_add_co_ci_u32_e64 v11, null, s7, 0, s2
	s_clause 0x3
	global_load_b32 v140, v[8:9], off offset:16
	global_load_b32 v144, v[10:11], off offset:16
	global_load_b128 v[75:78], v[10:11], off
	global_load_b128 v[171:174], v[8:9], off
	v_mul_f16_e32 v9, -0.5, v2
	v_sub_f16_e32 v8, v51, v55
	ds_load_2addr_b32 v[21:22], v96 offset0:32 offset1:176
	ds_load_2addr_b32 v[25:26], v98 offset0:96 offset1:240
	;; [unrolled: 1-line block ×6, first 2 shown]
	global_wb scope:SCOPE_SE
	s_wait_loadcnt_dscnt 0x0
	s_barrier_signal -1
	v_fmac_f16_e32 v9, 0x3aee, v1
	v_mul_f16_e32 v1, -0.5, v1
	s_barrier_wait -1
	global_inv scope:SCOPE_SE
	v_sub_f16_e32 v10, v12, v31
	v_mul_f16_e32 v12, 0xbaee, v44
	v_fmac_f16_e32 v1, 0xbaee, v2
	v_pack_b32_f16 v2, v7, v8
	v_add_f16_e32 v7, v46, v9
	ds_store_2addr_b32 v138, v56, v61 offset1:6
	v_fmac_f16_e32 v12, 0.5, v45
	v_add_f16_e32 v8, v48, v1
	v_sub_f16_e32 v1, v48, v1
	s_delay_alu instid0(VALU_DEP_2)
	v_pack_b32_f16 v7, v7, v8
	v_sub_f16_e32 v8, v60, v58
	ds_store_2addr_b32 v138, v7, v2 offset0:12 offset1:18
	v_sub_f16_e32 v2, v59, v57
	v_sub_f16_e32 v7, v46, v9
	v_add_f16_e32 v9, v42, v41
	s_delay_alu instid0(VALU_DEP_3) | instskip(NEXT) | instid1(VALU_DEP_3)
	v_pack_b32_f16 v2, v2, v8
	v_pack_b32_f16 v1, v7, v1
	v_add_f16_e32 v7, v13, v39
	v_add_f16_e32 v8, v23, v40
	ds_store_2addr_b32 v138, v2, v1 offset0:24 offset1:30
	v_mad_u16 v1, v19, 36, v20
	v_add_f16_e32 v2, v4, v13
	v_fmac_f16_e32 v4, -0.5, v7
	v_add_f16_e32 v7, v6, v8
	s_delay_alu instid0(VALU_DEP_4) | instskip(NEXT) | instid1(VALU_DEP_4)
	v_and_b32_e32 v1, 0xffff, v1
	v_add_f16_e32 v2, v2, v39
	s_delay_alu instid0(VALU_DEP_4)
	v_fmamk_f16 v13, v10, 0xbaee, v4
	v_fmac_f16_e32 v4, 0x3aee, v10
	v_lshrrev_b32_e32 v39, 16, v36
	v_lshlrev_b32_e32 v146, 2, v1
	v_add_f16_e32 v11, v2, v9
	v_sub_f16_e32 v1, v6, v8
	v_sub_f16_e32 v2, v2, v9
	v_lshrrev_b32_e32 v8, 16, v28
	v_add_f16_e32 v20, v13, v12
	v_pack_b32_f16 v7, v7, v11
	v_mul_f16_e32 v11, 0x3aee, v45
	v_pack_b32_f16 v0, v1, v2
	v_add_f16_e32 v1, v4, v5
	v_sub_f16_e32 v2, v4, v5
	v_lshrrev_b32_e32 v6, 16, v27
	v_fmac_f16_e32 v11, 0.5, v44
	s_delay_alu instid0(VALU_DEP_4) | instskip(NEXT) | instid1(VALU_DEP_2)
	v_pack_b32_f16 v1, v47, v1
	v_add_f16_e32 v19, v43, v11
	ds_store_2addr_b32 v146, v1, v0 offset0:12 offset1:18
	v_sub_f16_e32 v1, v13, v12
	v_lshrrev_b32_e32 v12, 16, v29
	v_sub_f16_e32 v0, v43, v11
	v_pack_b32_f16 v19, v19, v20
	s_delay_alu instid0(VALU_DEP_2)
	v_pack_b32_f16 v0, v0, v1
	v_pack_b32_f16 v1, v3, v2
	ds_store_2addr_b32 v146, v7, v19 offset1:6
	v_lshrrev_b32_e32 v19, 16, v30
	v_lshrrev_b32_e32 v2, 16, v26
	ds_store_2addr_b32 v146, v0, v1 offset0:24 offset1:30
	v_lshrrev_b32_e32 v0, 16, v25
	v_lshrrev_b32_e32 v145, 16, v140
	;; [unrolled: 1-line block ×8, first 2 shown]
	v_mul_f16_e64 v13, v12, v180
	v_mul_f16_e32 v9, v8, v68
	v_mul_f16_e32 v11, v28, v68
	v_mul_f16_e64 v23, v29, v180
	v_mul_f16_e64 v4, v25, v178
	v_fma_f16 v13, v29, v77, -v13
	v_fma_f16 v9, v28, v172, -v9
	v_lshrrev_b32_e32 v28, 16, v34
	v_lshrrev_b32_e32 v179, 16, v76
	;; [unrolled: 1-line block ×3, first 2 shown]
	v_mul_f16_e64 v31, v34, v176
	v_mul_f16_e64 v1, v0, v178
	;; [unrolled: 1-line block ×3, first 2 shown]
	v_mul_f16_e32 v5, v26, v74
	v_mul_f16_e64 v10, v27, v179
	v_mul_f16_e64 v20, v19, v175
	;; [unrolled: 1-line block ×3, first 2 shown]
	v_fma_f16 v29, v34, v174, -v29
	v_fmac_f16_e32 v4, v0, v75
	v_fmac_f16_e64 v11, v8, v172
	v_fmac_f16_e64 v31, v28, v174
	v_fma_f16 v1, v25, v75, -v1
	v_add_f16_e32 v0, v9, v29
	v_mul_f16_e32 v3, v2, v74
	v_mul_f16_e64 v7, v6, v179
	v_fma_f16 v20, v30, v173, -v20
	v_mul_f16_e64 v25, v30, v175
	v_fma_f16 v40, v36, v140, -v40
	v_mul_f16_e64 v36, v36, v145
	v_fmac_f16_e32 v10, v6, v76
	v_fmac_f16_e64 v5, v2, v171
	v_lshrrev_b32_e32 v2, 16, v22
	v_add_f16_e32 v6, v22, v9
	v_fmac_f16_e32 v22, -0.5, v0
	v_sub_f16_e32 v0, v11, v31
	v_fma_f16 v3, v26, v171, -v3
	v_fmac_f16_e64 v25, v19, v173
	v_fmac_f16_e64 v36, v39, v140
	v_lshrrev_b32_e32 v26, 16, v33
	v_fmamk_f16 v8, v0, 0x3aee, v22
	v_fmac_f16_e32 v22, 0xbaee, v0
	v_add_f16_e32 v0, v20, v40
	v_lshrrev_b32_e32 v181, 16, v78
	v_fmac_f16_e32 v23, v12, v77
	v_add_f16_e32 v12, v3, v20
	v_fma_f16 v7, v27, v76, -v7
	v_fmac_f16_e32 v3, -0.5, v0
	v_sub_f16_e32 v0, v25, v36
	v_mul_f16_e64 v27, v26, v181
	v_mul_f16_e64 v30, v33, v181
	s_delay_alu instid0(VALU_DEP_3)
	v_fmamk_f16 v19, v0, 0x3aee, v3
	v_fmac_f16_e32 v3, 0xbaee, v0
	v_add_f16_e32 v0, v25, v36
	v_fma_f16 v27, v33, v78, -v27
	v_lshrrev_b32_e32 v33, 16, v35
	v_add_f16_e32 v25, v5, v25
	v_fmac_f16_e32 v30, v26, v78
	v_fmac_f16_e32 v5, -0.5, v0
	v_sub_f16_e32 v0, v20, v40
	v_mul_f16_e64 v34, v33, v148
	v_add_f16_e32 v26, v7, v27
	v_add_f16_e32 v39, v10, v30
	s_delay_alu instid0(VALU_DEP_4)
	v_fmamk_f16 v20, v0, 0xbaee, v5
	v_fmac_f16_e32 v5, 0x3aee, v0
	v_mul_f16_e32 v0, -0.5, v3
	v_fma_f16 v34, v35, v144, -v34
	v_mul_f16_e64 v35, v35, v148
	v_fma_f16 v26, -0.5, v26, v21
	s_delay_alu instid0(VALU_DEP_4) | instskip(SKIP_1) | instid1(VALU_DEP_4)
	v_fmac_f16_e32 v0, 0x3aee, v5
	v_mul_f16_e32 v5, -0.5, v5
	v_fmac_f16_e64 v35, v33, v144
	s_delay_alu instid0(VALU_DEP_3)
	v_add_f16_e32 v28, v22, v0
	v_sub_f16_e32 v0, v22, v0
	v_lshrrev_b32_e32 v22, 16, v21
	v_add_f16_e32 v21, v21, v7
	v_sub_f16_e32 v7, v7, v27
	v_fmac_f16_e32 v5, 0xbaee, v3
	s_delay_alu instid0(VALU_DEP_4)
	v_add_f16_e32 v33, v22, v10
	v_fmac_f16_e32 v22, -0.5, v39
	v_add_f16_e32 v21, v21, v27
	v_add_f16_e32 v27, v23, v35
	v_add_f16_e32 v39, v13, v34
	v_sub_f16_e32 v10, v10, v30
	v_add_f16_e32 v30, v33, v30
	v_add_f16_e32 v33, v4, v23
	v_fmac_f16_e32 v4, -0.5, v27
	v_add_f16_e32 v27, v1, v13
	v_sub_f16_e32 v13, v13, v34
	v_fmac_f16_e32 v1, -0.5, v39
	v_sub_f16_e32 v23, v23, v35
	v_add_f16_e32 v33, v33, v35
	v_add_f16_e32 v27, v27, v34
	v_fmamk_f16 v34, v13, 0xbaee, v4
	v_fmamk_f16 v43, v7, 0xbaee, v22
	;; [unrolled: 1-line block ×3, first 2 shown]
	v_fmac_f16_e32 v1, 0xbaee, v23
	v_fmac_f16_e32 v22, 0x3aee, v7
	v_mul_f16_e32 v39, 0x3aee, v34
	v_fmac_f16_e32 v4, 0x3aee, v13
	v_add_f16_e32 v41, v21, v27
	v_mul_f16_e32 v7, -0.5, v1
	v_add_f16_e32 v42, v30, v33
	v_fmac_f16_e32 v39, 0.5, v35
	v_mul_f16_e32 v35, 0xbaee, v35
	s_delay_alu instid0(VALU_DEP_4) | instskip(SKIP_2) | instid1(VALU_DEP_4)
	v_fmac_f16_e32 v7, 0x3aee, v4
	v_mul_f16_e32 v4, -0.5, v4
	v_pack_b32_f16 v41, v41, v42
	v_fmac_f16_e32 v35, 0.5, v34
	v_mad_u16 v34, v64, 36, v66
	v_fmamk_f16 v42, v10, 0x3aee, v26
	v_fmac_f16_e32 v26, 0xbaee, v10
	v_fmac_f16_e32 v4, 0xbaee, v1
	v_sub_f16_e32 v1, v21, v27
	v_and_b32_e32 v34, 0xffff, v34
	v_sub_f16_e32 v10, v30, v33
	v_add_f16_e32 v13, v26, v7
	v_add_f16_e32 v21, v22, v4
	v_sub_f16_e32 v7, v26, v7
	v_lshlrev_b32_e32 v152, 2, v34
	v_pack_b32_f16 v1, v1, v10
	v_sub_f16_e32 v10, v43, v35
	v_pack_b32_f16 v13, v13, v21
	v_sub_f16_e32 v4, v22, v4
	v_add_f16_e32 v44, v42, v39
	v_add_f16_e32 v45, v43, v35
	ds_store_2addr_b32 v152, v13, v1 offset0:12 offset1:18
	v_sub_f16_e32 v1, v42, v39
	v_pack_b32_f16 v4, v7, v4
	v_add_f16_e32 v7, v12, v40
	v_mad_u16 v12, v62, 36, v65
	v_pack_b32_f16 v44, v44, v45
	v_pack_b32_f16 v1, v1, v10
	v_mul_f16_e32 v10, 0x3aee, v20
	s_delay_alu instid0(VALU_DEP_4)
	v_and_b32_e32 v12, 0xffff, v12
	ds_store_2addr_b32 v152, v41, v44 offset1:6
	ds_store_2addr_b32 v152, v1, v4 offset0:24 offset1:30
	v_add_f16_e32 v1, v2, v11
	v_add_f16_e32 v4, v11, v31
	v_fmac_f16_e32 v10, 0.5, v19
	v_mul_f16_e32 v11, 0xbaee, v19
	v_lshlrev_b32_e32 v149, 2, v12
	v_add_f16_e32 v1, v1, v31
	v_fmac_f16_e32 v2, -0.5, v4
	v_add_f16_e32 v4, v6, v29
	v_sub_f16_e32 v6, v9, v29
	v_add_f16_e32 v9, v25, v36
	v_fmac_f16_e32 v11, 0.5, v20
	v_add_f16_e32 v20, v8, v10
	v_add_f16_e32 v13, v4, v7
	v_sub_f16_e32 v3, v4, v7
	v_add_f16_e32 v19, v1, v9
	v_sub_f16_e32 v1, v1, v9
	s_delay_alu instid0(VALU_DEP_2) | instskip(SKIP_2) | instid1(VALU_DEP_4)
	v_pack_b32_f16 v13, v13, v19
	v_fmamk_f16 v19, v6, 0xbaee, v2
	v_fmac_f16_e32 v2, 0x3aee, v6
	v_pack_b32_f16 v1, v3, v1
	s_delay_alu instid0(VALU_DEP_3) | instskip(NEXT) | instid1(VALU_DEP_3)
	v_sub_f16_e32 v3, v19, v11
	v_add_f16_e32 v4, v2, v5
	v_sub_f16_e32 v2, v2, v5
	v_add_f16_e32 v21, v19, v11
	s_delay_alu instid0(VALU_DEP_3) | instskip(NEXT) | instid1(VALU_DEP_3)
	v_pack_b32_f16 v4, v28, v4
	v_pack_b32_f16 v0, v0, v2
	s_delay_alu instid0(VALU_DEP_3)
	v_pack_b32_f16 v20, v20, v21
	ds_store_2addr_b32 v149, v4, v1 offset0:12 offset1:18
	v_sub_f16_e32 v1, v8, v10
	ds_store_2addr_b32 v149, v13, v20 offset1:6
	v_pack_b32_f16 v1, v1, v3
	ds_store_2addr_b32 v149, v1, v0 offset0:24 offset1:30
	v_mul_u32_u24_e32 v0, 0xe38f, v63
	v_mul_lo_u16 v1, v17, 57
	global_wb scope:SCOPE_SE
	s_wait_dscnt 0x0
	s_barrier_signal -1
	s_barrier_wait -1
	v_lshrrev_b32_e32 v33, 21, v0
	global_inv scope:SCOPE_SE
	ds_load_2addr_b32 v[25:26], v130 offset0:64 offset1:208
	v_mul_lo_u16 v0, v33, 36
	s_delay_alu instid0(VALU_DEP_1) | instskip(SKIP_1) | instid1(VALU_DEP_2)
	v_sub_nc_u16 v34, v16, v0
	v_mul_u32_u24_e32 v0, 0xe38f, v18
	v_mad_u16 v33, 0xd8, v33, v34
	s_delay_alu instid0(VALU_DEP_2) | instskip(SKIP_1) | instid1(VALU_DEP_3)
	v_lshrrev_b32_e32 v35, 21, v0
	v_lshrrev_b16 v0, 11, v1
	v_and_b32_e32 v33, 0xffff, v33
	s_delay_alu instid0(VALU_DEP_3) | instskip(NEXT) | instid1(VALU_DEP_2)
	v_mul_lo_u16 v1, v35, 36
	v_lshlrev_b32_e32 v165, 2, v33
	s_delay_alu instid0(VALU_DEP_2) | instskip(SKIP_2) | instid1(VALU_DEP_3)
	v_sub_nc_u16 v36, v38, v1
	v_mul_lo_u16 v1, v0, 36
	v_and_b32_e32 v0, 0xffff, v0
	v_mul_lo_u16 v2, v36, 20
	s_delay_alu instid0(VALU_DEP_3) | instskip(NEXT) | instid1(VALU_DEP_3)
	v_sub_nc_u16 v1, v37, v1
	v_mul_u32_u24_e32 v0, 0xd8, v0
	s_delay_alu instid0(VALU_DEP_3) | instskip(NEXT) | instid1(VALU_DEP_3)
	v_and_b32_e32 v2, 0xffff, v2
	v_and_b32_e32 v1, 0xff, v1
	s_delay_alu instid0(VALU_DEP_2) | instskip(NEXT) | instid1(VALU_DEP_2)
	v_add_co_u32 v16, s2, s6, v2
	v_mad_co_u64_u32 v[18:19], null, v1, 20, s[6:7]
	s_wait_alu 0xf1ff
	v_add_co_ci_u32_e64 v17, null, s7, 0, s2
	s_clause 0x3
	global_load_b32 v170, v[18:19], off offset:136
	global_load_b128 v[20:23], v[18:19], off offset:120
	global_load_b32 v150, v[16:17], off offset:136
	global_load_b128 v[16:19], v[16:17], off offset:120
	v_add_lshl_u32 v147, v0, v1, 2
	s_wait_dscnt 0x0
	v_lshrrev_b32_e32 v0, 16, v25
	v_lshrrev_b32_e32 v2, 16, v26
	v_add_co_u32 v24, s2, s6, v24
	s_wait_loadcnt 0x3
	v_lshrrev_b32_e32 v73, 16, v170
	s_wait_loadcnt 0x2
	v_lshrrev_b32_e32 v192, 16, v20
	;; [unrolled: 2-line block ×3, first 2 shown]
	v_lshrrev_b32_e32 v195, 16, v21
	v_lshrrev_b32_e32 v184, 16, v17
	;; [unrolled: 1-line block ×3, first 2 shown]
	v_mul_f16_e64 v1, v0, v192
	v_mul_f16_e64 v3, v2, v183
	;; [unrolled: 1-line block ×4, first 2 shown]
	v_lshrrev_b32_e32 v186, 16, v18
	v_fma_f16 v1, v25, v20, -v1
	v_fma_f16 v3, v26, v16, -v3
	ds_load_2addr_b32 v[25:26], v128 offset1:144
	v_lshrrev_b32_e32 v197, 16, v23
	v_lshrrev_b32_e32 v188, 16, v19
	;; [unrolled: 1-line block ×3, first 2 shown]
	v_fmac_f16_e32 v4, v0, v20
	v_fmac_f16_e32 v5, v2, v16
	s_wait_dscnt 0x0
	v_lshrrev_b32_e32 v6, 16, v25
	v_lshrrev_b32_e32 v8, 16, v26
	v_mul_f16_e64 v10, v25, v195
	v_mul_f16_e64 v11, v26, v184
	s_delay_alu instid0(VALU_DEP_4) | instskip(NEXT) | instid1(VALU_DEP_4)
	v_mul_f16_e64 v7, v6, v195
	v_mul_f16_e64 v9, v8, v184
	s_delay_alu instid0(VALU_DEP_4) | instskip(NEXT) | instid1(VALU_DEP_4)
	v_fmac_f16_e32 v10, v6, v21
	v_fmac_f16_e32 v11, v8, v17
	s_delay_alu instid0(VALU_DEP_4) | instskip(NEXT) | instid1(VALU_DEP_4)
	v_fma_f16 v7, v25, v21, -v7
	v_fma_f16 v9, v26, v17, -v9
	ds_load_2addr_b32 v[25:26], v127 offset0:64 offset1:208
	s_wait_dscnt 0x0
	v_lshrrev_b32_e32 v12, 16, v25
	v_lshrrev_b32_e32 v27, 16, v26
	v_mul_f16_e64 v29, v25, v196
	v_mul_f16_e64 v30, v26, v186
	s_delay_alu instid0(VALU_DEP_4) | instskip(NEXT) | instid1(VALU_DEP_4)
	v_mul_f16_e64 v13, v12, v196
	v_mul_f16_e64 v28, v27, v186
	s_delay_alu instid0(VALU_DEP_4) | instskip(NEXT) | instid1(VALU_DEP_4)
	v_fmac_f16_e32 v29, v12, v22
	v_fmac_f16_e32 v30, v27, v18
	s_delay_alu instid0(VALU_DEP_4) | instskip(NEXT) | instid1(VALU_DEP_4)
	v_fma_f16 v13, v25, v22, -v13
	v_fma_f16 v28, v26, v18, -v28
	ds_load_2addr_b32 v[25:26], v126 offset1:144
	v_add_f16_e32 v55, v5, v30
	v_add_f16_e32 v8, v3, v28
	s_wait_dscnt 0x0
	v_lshrrev_b32_e32 v31, 16, v25
	v_lshrrev_b32_e32 v40, 16, v26
	v_mul_f16_e64 v52, v26, v188
	s_delay_alu instid0(VALU_DEP_3) | instskip(NEXT) | instid1(VALU_DEP_3)
	v_mul_f16_e64 v39, v31, v197
	v_mul_f16_e64 v41, v40, v188
	s_delay_alu instid0(VALU_DEP_3) | instskip(NEXT) | instid1(VALU_DEP_3)
	v_fmac_f16_e32 v52, v40, v19
	v_fma_f16 v39, v25, v23, -v39
	s_delay_alu instid0(VALU_DEP_3)
	v_fma_f16 v51, v26, v19, -v41
	v_mul_f16_e64 v41, v25, v197
	ds_load_2addr_b32 v[25:26], v123 offset0:64 offset1:208
	v_add_f16_e32 v27, v7, v39
	v_add_f16_e32 v0, v9, v51
	v_fmac_f16_e32 v41, v31, v23
	s_delay_alu instid0(VALU_DEP_1) | instskip(SKIP_4) | instid1(VALU_DEP_3)
	v_sub_f16_e32 v62, v10, v41
	s_wait_dscnt 0x0
	v_lshrrev_b32_e32 v42, 16, v25
	v_lshrrev_b32_e32 v44, 16, v26
	v_mul_f16_e64 v54, v26, v153
	v_mul_f16_e32 v43, v42, v73
	s_delay_alu instid0(VALU_DEP_3) | instskip(NEXT) | instid1(VALU_DEP_3)
	v_mul_f16_e64 v45, v44, v153
	v_fmac_f16_e64 v54, v44, v150
	s_delay_alu instid0(VALU_DEP_3) | instskip(NEXT) | instid1(VALU_DEP_3)
	v_fma_f16 v43, v25, v170, -v43
	v_fma_f16 v53, v26, v150, -v45
	v_mul_f16_e32 v45, v25, v73
	ds_load_2addr_b32 v[25:26], v117 offset1:144
	v_add_f16_e32 v8, v8, v53
	v_fmac_f16_e64 v45, v42, v170
	s_delay_alu instid0(VALU_DEP_1)
	v_sub_f16_e32 v65, v29, v45
	s_wait_dscnt 0x0
	v_lshrrev_b32_e32 v2, 16, v26
	v_add_f16_e32 v6, v26, v9
	v_fmac_f16_e32 v26, -0.5, v0
	v_add_f16_e32 v0, v28, v53
	v_fma_f16 v59, -0.5, v27, v25
	v_lshrrev_b32_e32 v61, 16, v25
	v_add_f16_e32 v25, v25, v7
	v_add_f16_e32 v27, v29, v45
	v_fmac_f16_e32 v3, -0.5, v0
	v_add_f16_e32 v0, v30, v54
	v_sub_f16_e32 v7, v7, v39
	v_add_f16_e32 v12, v25, v39
	v_add_f16_e32 v25, v61, v10
	;; [unrolled: 1-line block ×3, first 2 shown]
	v_fmac_f16_e32 v5, -0.5, v0
	v_sub_f16_e32 v0, v11, v52
	v_fma_f16 v157, 0x3aee, v62, v59
	v_add_f16_e32 v63, v25, v41
	v_add_f16_e32 v25, v1, v13
	v_fmac_f16_e32 v61, -0.5, v10
	v_fmamk_f16 v56, v0, 0x3aee, v26
	v_fmac_f16_e32 v26, 0xbaee, v0
	v_sub_f16_e32 v0, v30, v54
	v_add_f16_e32 v64, v25, v43
	v_add_f16_e32 v25, v4, v29
	v_fmac_f16_e32 v4, -0.5, v27
	v_fma_f16 v158, 0xbaee, v7, v61
	v_fmamk_f16 v57, v0, 0x3aee, v3
	v_fmac_f16_e32 v3, 0xbaee, v0
	v_sub_f16_e32 v0, v28, v53
	v_add_f16_e32 v66, v25, v45
	v_add_f16_e32 v10, v12, v64
	v_fmac_f16_e32 v61, 0x3aee, v7
	v_sub_f16_e32 v7, v12, v64
	v_fmamk_f16 v58, v0, 0xbaee, v5
	v_fmac_f16_e32 v5, 0x3aee, v0
	v_mul_f16_e32 v0, -0.5, v3
	v_add_f16_e32 v25, v63, v66
	v_fmac_f16_e32 v59, 0xbaee, v62
	v_add_f16_e32 v6, v6, v51
	v_sub_f16_e32 v9, v9, v51
	v_fmac_f16_e32 v0, 0x3aee, v5
	v_pack_b32_f16 v10, v10, v25
	v_mul_f16_e32 v5, -0.5, v5
	s_delay_alu instid0(VALU_DEP_3) | instskip(SKIP_4) | instid1(VALU_DEP_3)
	v_add_f16_e32 v60, v26, v0
	v_sub_f16_e32 v0, v26, v0
	v_add_f16_e32 v26, v13, v43
	v_sub_f16_e32 v13, v13, v43
	v_fmac_f16_e32 v5, 0xbaee, v3
	v_fmac_f16_e32 v1, -0.5, v26
	s_delay_alu instid0(VALU_DEP_3) | instskip(SKIP_1) | instid1(VALU_DEP_3)
	v_fmamk_f16 v25, v13, 0xbaee, v4
	v_fmac_f16_e32 v4, 0x3aee, v13
	v_fmamk_f16 v26, v65, 0x3aee, v1
	s_delay_alu instid0(VALU_DEP_3) | instskip(SKIP_1) | instid1(VALU_DEP_3)
	v_mul_f16_e32 v67, 0x3aee, v25
	v_fmac_f16_e32 v1, 0xbaee, v65
	v_mul_f16_e32 v102, 0xbaee, v26
	s_delay_alu instid0(VALU_DEP_3) | instskip(NEXT) | instid1(VALU_DEP_3)
	v_fmac_f16_e32 v67, 0.5, v26
	v_mul_f16_e32 v12, -0.5, v1
	s_delay_alu instid0(VALU_DEP_3) | instskip(NEXT) | instid1(VALU_DEP_3)
	v_fmac_f16_e32 v102, 0.5, v25
	v_add_f16_e64 v25, v157, v67
	s_delay_alu instid0(VALU_DEP_3) | instskip(SKIP_1) | instid1(VALU_DEP_4)
	v_fmac_f16_e32 v12, 0x3aee, v4
	v_mul_f16_e32 v4, -0.5, v4
	v_add_f16_e64 v26, v158, v102
	s_delay_alu instid0(VALU_DEP_2) | instskip(NEXT) | instid1(VALU_DEP_2)
	v_fmac_f16_e32 v4, 0xbaee, v1
	v_pack_b32_f16 v160, v25, v26
	v_mul_lo_u16 v25, v34, 20
	s_delay_alu instid0(VALU_DEP_1) | instskip(SKIP_2) | instid1(VALU_DEP_2)
	v_and_b32_e32 v26, 0xffff, v25
	s_wait_alu 0xf1ff
	v_add_co_ci_u32_e64 v25, null, s7, 0, s2
	v_add_co_u32 v26, s2, s6, v26
	s_wait_alu 0xf1ff
	v_add_co_ci_u32_e64 v27, null, s7, 0, s2
	s_clause 0x3
	global_load_b32 v151, v[24:25], off offset:136
	global_load_b32 v155, v[26:27], off offset:136
	global_load_b128 v[28:31], v[26:27], off offset:120
	global_load_b128 v[24:27], v[24:25], off offset:120
	ds_load_2addr_b32 v[39:40], v96 offset0:32 offset1:176
	ds_load_2addr_b32 v[41:42], v98 offset0:96 offset1:240
	;; [unrolled: 1-line block ×6, first 2 shown]
	global_wb scope:SCOPE_SE
	s_wait_loadcnt_dscnt 0x0
	s_barrier_signal -1
	s_barrier_wait -1
	global_inv scope:SCOPE_SE
	ds_store_2addr_b32 v147, v10, v160 offset1:36
	v_sub_f16_e32 v10, v63, v66
	s_delay_alu instid0(VALU_DEP_1) | instskip(SKIP_3) | instid1(VALU_DEP_2)
	v_pack_b32_f16 v1, v7, v10
	v_add_f16_e32 v7, v59, v12
	v_add_f16_e32 v10, v61, v4
	v_sub_f16_e32 v4, v61, v4
	v_pack_b32_f16 v7, v7, v10
	v_sub_f16_e64 v10, v158, v102
	v_add_nc_u32_e32 v102, 0x680, v117
	ds_store_2addr_b32 v147, v7, v1 offset0:72 offset1:108
	v_sub_f16_e64 v1, v157, v67
	v_sub_f16_e32 v7, v59, v12
	v_mul_f16_e32 v12, 0xbaee, v57
	s_delay_alu instid0(VALU_DEP_3) | instskip(NEXT) | instid1(VALU_DEP_3)
	v_pack_b32_f16 v1, v1, v10
	v_pack_b32_f16 v4, v7, v4
	v_add_f16_e32 v7, v11, v52
	v_add_f16_e32 v10, v55, v54
	v_fmac_f16_e32 v12, 0.5, v58
	ds_store_2addr_b32 v147, v1, v4 offset0:144 offset1:180
	v_add_f16_e32 v4, v2, v11
	v_mad_u16 v1, 0xd8, v35, v36
	v_fmac_f16_e32 v2, -0.5, v7
	v_add_f16_e32 v7, v6, v8
	s_delay_alu instid0(VALU_DEP_4) | instskip(NEXT) | instid1(VALU_DEP_4)
	v_add_f16_e32 v4, v4, v52
	v_and_b32_e32 v1, 0xffff, v1
	s_delay_alu instid0(VALU_DEP_4) | instskip(SKIP_1) | instid1(VALU_DEP_4)
	v_fmamk_f16 v13, v9, 0xbaee, v2
	v_fmac_f16_e32 v2, 0x3aee, v9
	v_add_f16_e32 v11, v4, v10
	s_delay_alu instid0(VALU_DEP_4)
	v_lshlrev_b32_e32 v157, 2, v1
	v_sub_f16_e32 v1, v6, v8
	v_sub_f16_e32 v4, v4, v10
	v_add_f16_e32 v3, v2, v5
	v_pack_b32_f16 v7, v7, v11
	v_mul_f16_e32 v11, 0x3aee, v58
	v_sub_f16_e32 v2, v2, v5
	v_pack_b32_f16 v1, v1, v4
	v_pack_b32_f16 v3, v60, v3
	v_add_f16_e32 v36, v13, v12
	v_fmac_f16_e32 v11, 0.5, v57
	v_pack_b32_f16 v0, v0, v2
	v_lshrrev_b32_e32 v2, 16, v42
	ds_store_2addr_b32 v157, v3, v1 offset0:72 offset1:108
	v_sub_f16_e32 v3, v13, v12
	v_sub_f16_e32 v1, v56, v11
	v_add_f16_e32 v35, v56, v11
	v_lshrrev_b32_e32 v5, 16, v43
	v_lshrrev_b32_e32 v10, 16, v45
	;; [unrolled: 1-line block ×3, first 2 shown]
	v_pack_b32_f16 v1, v1, v3
	v_pack_b32_f16 v35, v35, v36
	v_lshrrev_b32_e32 v36, 16, v47
	ds_store_2addr_b32 v157, v1, v0 offset0:144 offset1:180
	v_lshrrev_b32_e32 v0, 16, v41
	ds_store_2addr_b32 v157, v7, v35 offset1:36
	v_lshrrev_b32_e32 v7, 16, v44
	v_lshrrev_b32_e32 v158, 16, v151
	;; [unrolled: 1-line block ×8, first 2 shown]
	v_mul_f16_e64 v1, v41, v213
	v_mul_f16_e64 v3, v2, v209
	;; [unrolled: 1-line block ×4, first 2 shown]
	v_lshrrev_b32_e32 v210, 16, v25
	v_fmac_f16_e32 v1, v0, v28
	v_mul_f16_e64 v0, v0, v213
	v_fma_f16 v3, v42, v24, -v3
	v_fmac_f16_e32 v6, v5, v29
	v_mul_f16_e64 v5, v5, v214
	v_mul_f16_e64 v11, v45, v215
	v_fma_f16 v0, v41, v28, -v0
	v_lshrrev_b32_e32 v211, 16, v26
	v_mul_f16_e64 v41, v47, v216
	v_lshrrev_b32_e32 v42, 16, v48
	v_lshrrev_b32_e32 v212, 16, v27
	v_fma_f16 v5, v43, v29, -v5
	v_mul_f16_e64 v8, v7, v210
	v_fmac_f16_e32 v11, v10, v30
	v_mul_f16_e64 v10, v10, v215
	v_mul_f16_e64 v13, v12, v211
	v_fmac_f16_e32 v41, v36, v31
	v_mul_f16_e64 v36, v36, v216
	v_mul_f16_e64 v43, v42, v212
	v_fma_f16 v8, v44, v25, -v8
	v_mul_f16_e64 v9, v44, v210
	v_fma_f16 v10, v45, v30, -v10
	v_fma_f16 v13, v46, v26, -v13
	v_mul_f16_e64 v35, v46, v211
	v_fma_f16 v36, v47, v31, -v36
	v_fma_f16 v43, v48, v27, -v43
	v_mul_f16_e64 v44, v48, v212
	v_lshrrev_b32_e32 v45, 16, v49
	v_mul_f16_e64 v46, v49, v160
	v_lshrrev_b32_e32 v47, 16, v50
	v_fmac_f16_e32 v4, v2, v24
	v_fmac_f16_e32 v9, v7, v25
	;; [unrolled: 1-line block ×3, first 2 shown]
	v_fmac_f16_e64 v46, v45, v155
	v_mul_f16_e64 v45, v45, v160
	v_mul_f16_e64 v48, v47, v158
	v_add_f16_e32 v2, v8, v43
	v_fmac_f16_e32 v35, v12, v26
	v_lshrrev_b32_e32 v7, 16, v40
	v_fma_f16 v45, v49, v155, -v45
	v_fma_f16 v48, v50, v151, -v48
	v_mul_f16_e64 v49, v50, v158
	v_add_f16_e32 v12, v40, v8
	v_fmac_f16_e32 v40, -0.5, v2
	v_sub_f16_e32 v2, v9, v44
	v_add_f16_e32 v51, v5, v36
	v_fmac_f16_e64 v49, v47, v151
	v_add_f16_e32 v47, v3, v13
	v_add_f16_e32 v54, v6, v41
	v_fmamk_f16 v42, v2, 0x3aee, v40
	v_fmac_f16_e32 v40, 0xbaee, v2
	v_add_f16_e32 v2, v13, v48
	v_fma_f16 v51, -0.5, v51, v39
	s_delay_alu instid0(VALU_DEP_2) | instskip(SKIP_1) | instid1(VALU_DEP_1)
	v_fmac_f16_e32 v3, -0.5, v2
	v_sub_f16_e32 v2, v35, v49
	v_fmamk_f16 v50, v2, 0x3aee, v3
	v_fmac_f16_e32 v3, 0xbaee, v2
	v_add_f16_e32 v2, v35, v49
	v_add_f16_e32 v35, v4, v35
	s_delay_alu instid0(VALU_DEP_2) | instskip(SKIP_1) | instid1(VALU_DEP_1)
	v_fmac_f16_e32 v4, -0.5, v2
	v_sub_f16_e32 v2, v13, v48
	v_fmamk_f16 v13, v2, 0xbaee, v4
	v_fmac_f16_e32 v4, 0x3aee, v2
	v_mul_f16_e32 v2, -0.5, v3
	s_delay_alu instid0(VALU_DEP_1) | instskip(SKIP_1) | instid1(VALU_DEP_2)
	v_fmac_f16_e32 v2, 0x3aee, v4
	v_mul_f16_e32 v4, -0.5, v4
	v_add_f16_e32 v52, v40, v2
	v_sub_f16_e32 v2, v40, v2
	v_lshrrev_b32_e32 v40, 16, v39
	v_add_f16_e32 v39, v39, v5
	v_sub_f16_e32 v5, v5, v36
	v_fmac_f16_e32 v4, 0xbaee, v3
	s_delay_alu instid0(VALU_DEP_4) | instskip(NEXT) | instid1(VALU_DEP_4)
	v_add_f16_e32 v53, v40, v6
	v_add_f16_e32 v39, v39, v36
	;; [unrolled: 1-line block ×3, first 2 shown]
	v_sub_f16_e32 v6, v6, v41
	v_fmac_f16_e32 v40, -0.5, v54
	v_add_f16_e32 v41, v53, v41
	v_add_f16_e32 v53, v1, v11
	v_fmac_f16_e32 v1, -0.5, v36
	v_add_f16_e32 v36, v0, v10
	v_add_f16_e32 v54, v10, v45
	v_sub_f16_e32 v10, v10, v45
	v_sub_f16_e32 v11, v11, v46
	v_fmamk_f16 v55, v5, 0xbaee, v40
	v_add_f16_e32 v36, v36, v45
	v_fmac_f16_e32 v0, -0.5, v54
	v_add_f16_e32 v45, v53, v46
	v_fmamk_f16 v46, v10, 0xbaee, v1
	v_fmac_f16_e32 v40, 0x3aee, v5
	v_fmac_f16_e32 v1, 0x3aee, v10
	v_fmamk_f16 v53, v11, 0x3aee, v0
	v_fmac_f16_e32 v0, 0xbaee, v11
	v_mul_f16_e32 v54, 0x3aee, v46
	v_add_f16_e32 v34, v39, v36
	s_delay_alu instid0(VALU_DEP_3) | instskip(NEXT) | instid1(VALU_DEP_3)
	v_mul_f16_e32 v5, -0.5, v0
	v_fmac_f16_e32 v54, 0.5, v53
	v_mul_f16_e32 v53, 0xbaee, v53
	s_delay_alu instid0(VALU_DEP_3) | instskip(SKIP_1) | instid1(VALU_DEP_3)
	v_fmac_f16_e32 v5, 0x3aee, v1
	v_mul_f16_e32 v1, -0.5, v1
	v_fmac_f16_e32 v53, 0.5, v46
	v_add_f16_e32 v46, v41, v45
	s_delay_alu instid0(VALU_DEP_3) | instskip(SKIP_1) | instid1(VALU_DEP_3)
	v_fmac_f16_e32 v1, 0xbaee, v0
	v_sub_f16_e32 v0, v39, v36
	v_pack_b32_f16 v34, v34, v46
	v_fmamk_f16 v46, v6, 0x3aee, v51
	v_fmac_f16_e32 v51, 0xbaee, v6
	v_sub_f16_e32 v6, v41, v45
	v_add_f16_e32 v11, v40, v1
	v_sub_f16_e32 v1, v40, v1
	v_add_f16_e32 v56, v46, v54
	v_add_f16_e32 v10, v51, v5
	v_pack_b32_f16 v0, v0, v6
	v_sub_f16_e32 v5, v51, v5
	v_sub_f16_e32 v6, v55, v53
	v_add_f16_e32 v57, v55, v53
	v_pack_b32_f16 v10, v10, v11
	v_mad_u16 v11, 0xd8, v161, v177
	v_pack_b32_f16 v1, v5, v1
	v_sub_f16_e32 v5, v8, v43
	v_add_f16_e32 v8, v35, v49
	ds_store_2addr_b32 v165, v10, v0 offset0:72 offset1:108
	v_sub_f16_e32 v0, v46, v54
	v_mul_f16_e32 v10, 0xbaee, v50
	v_and_b32_e32 v11, 0xffff, v11
	v_pack_b32_f16 v56, v56, v57
	s_delay_alu instid0(VALU_DEP_4)
	v_pack_b32_f16 v0, v0, v6
	v_add_f16_e32 v6, v47, v48
	v_fmac_f16_e32 v10, 0.5, v13
	v_lshlrev_b32_e32 v161, 2, v11
	ds_store_2addr_b32 v165, v34, v56 offset1:36
	ds_store_2addr_b32 v165, v0, v1 offset0:144 offset1:180
	v_add_f16_e32 v0, v7, v9
	v_add_f16_e32 v1, v9, v44
	v_mul_f16_e32 v9, 0x3aee, v13
	s_delay_alu instid0(VALU_DEP_3) | instskip(NEXT) | instid1(VALU_DEP_3)
	v_add_f16_e32 v0, v0, v44
	v_fmac_f16_e32 v7, -0.5, v1
	v_add_f16_e32 v1, v12, v43
	s_delay_alu instid0(VALU_DEP_4) | instskip(NEXT) | instid1(VALU_DEP_4)
	v_fmac_f16_e32 v9, 0.5, v50
	v_add_f16_e32 v13, v0, v8
	v_sub_f16_e32 v0, v0, v8
	s_delay_alu instid0(VALU_DEP_4) | instskip(SKIP_2) | instid1(VALU_DEP_3)
	v_add_f16_e32 v12, v1, v6
	v_sub_f16_e32 v1, v1, v6
	v_add_f16_e32 v33, v42, v9
	v_pack_b32_f16 v12, v12, v13
	v_fmamk_f16 v13, v5, 0xbaee, v7
	v_fmac_f16_e32 v7, 0x3aee, v5
	v_pack_b32_f16 v0, v1, v0
	s_delay_alu instid0(VALU_DEP_3) | instskip(NEXT) | instid1(VALU_DEP_3)
	v_sub_f16_e32 v1, v13, v10
	v_add_f16_e32 v3, v7, v4
	v_add_f16_e32 v34, v13, v10
	s_delay_alu instid0(VALU_DEP_2) | instskip(NEXT) | instid1(VALU_DEP_2)
	v_pack_b32_f16 v3, v52, v3
	v_pack_b32_f16 v33, v33, v34
	ds_store_2addr_b32 v161, v3, v0 offset0:72 offset1:108
	v_sub_f16_e32 v0, v42, v9
	v_sub_f16_e32 v3, v7, v4
	ds_store_2addr_b32 v161, v12, v33 offset1:36
	v_pack_b32_f16 v0, v0, v1
	v_pack_b32_f16 v1, v2, v3
	ds_store_2addr_b32 v161, v0, v1 offset0:144 offset1:180
	v_add_nc_u32_e32 v0, 0xffffffb8, v129
	global_wb scope:SCOPE_SE
	s_wait_dscnt 0x0
	s_barrier_signal -1
	s_barrier_wait -1
	global_inv scope:SCOPE_SE
	v_cndmask_b32_e32 v0, v0, v38, vcc_lo
	v_mad_co_u64_u32 v[35:36], null, v129, 12, s[6:7]
	s_delay_alu instid0(VALU_DEP_2) | instskip(SKIP_1) | instid1(VALU_DEP_2)
	v_mul_i32_i24_e32 v1, 12, v0
	v_mul_hi_i32_i24_e32 v2, 12, v0
	v_add_co_u32 v39, vcc_lo, s6, v1
	v_lshrrev_b16 v1, 3, v32
	s_wait_alu 0xfffd
	s_delay_alu instid0(VALU_DEP_3) | instskip(SKIP_3) | instid1(VALU_DEP_3)
	v_add_co_ci_u32_e32 v40, vcc_lo, s7, v2, vcc_lo
	v_add_nc_u16 v2, v37, 0x240
	v_cmp_lt_u16_e32 vcc_lo, 0x47, v37
	v_and_b32_e32 v1, 0xffff, v1
	v_lshrrev_b16 v3, 3, v2
	s_delay_alu instid0(VALU_DEP_2) | instskip(NEXT) | instid1(VALU_DEP_2)
	v_mul_u32_u24_e32 v1, 0x12f7, v1
	v_and_b32_e32 v3, 0xffff, v3
	s_delay_alu instid0(VALU_DEP_2) | instskip(NEXT) | instid1(VALU_DEP_2)
	v_lshrrev_b32_e32 v1, 17, v1
	v_mul_u32_u24_e32 v3, 0x12f7, v3
	s_delay_alu instid0(VALU_DEP_2) | instskip(NEXT) | instid1(VALU_DEP_2)
	v_mul_lo_u16 v1, 0xd8, v1
	v_lshrrev_b32_e32 v3, 17, v3
	s_delay_alu instid0(VALU_DEP_2)
	v_sub_nc_u16 v1, v32, v1
	s_clause 0x1
	global_load_b96 v[32:34], v[35:36], off offset:840
	global_load_b96 v[44:46], v[35:36], off offset:1704
	ds_load_2addr_b32 v[59:60], v127 offset0:64 offset1:208
	v_mul_lo_u16 v4, 0xd8, v3
	ds_load_2addr_b32 v[55:56], v98 offset0:96 offset1:240
	ds_load_2addr_b32 v[57:58], v94 offset0:32 offset1:176
	ds_load_2addr_b32 v[61:62], v117 offset1:144
	v_mul_lo_u16 v13, v1, 12
	v_sub_nc_u16 v2, v2, v4
	v_add_nc_u16 v4, v37, 0x2d0
	s_wait_alu 0xfffd
	v_cndmask_b32_e64 v37, 0, 0x360, vcc_lo
	v_and_b32_e32 v1, 0xffff, v1
	v_and_b32_e32 v13, 0xffff, v13
	v_lshrrev_b16 v5, 3, v4
	s_delay_alu instid0(VALU_DEP_4) | instskip(NEXT) | instid1(VALU_DEP_4)
	v_add_lshl_u32 v177, v0, v37, 2
	v_lshlrev_b32_e32 v1, 2, v1
	s_delay_alu instid0(VALU_DEP_3) | instskip(NEXT) | instid1(VALU_DEP_3)
	v_and_b32_e32 v5, 0xffff, v5
	v_add_nc_u32_e32 v182, 0x680, v177
	s_delay_alu instid0(VALU_DEP_3)
	v_add_nc_u32_e32 v193, 0x1b00, v1
	s_wait_dscnt 0x3
	v_lshrrev_b32_e32 v9, 16, v59
	v_add_nc_u32_e32 v194, 0x2180, v1
	v_mul_u32_u24_e32 v5, 0x12f7, v5
	s_wait_dscnt 0x1
	v_lshrrev_b32_e32 v7, 16, v57
	s_wait_dscnt 0x0
	v_lshrrev_b32_e32 v11, 16, v61
	v_lshrrev_b32_e32 v5, 17, v5
	s_delay_alu instid0(VALU_DEP_1) | instskip(NEXT) | instid1(VALU_DEP_1)
	v_mul_lo_u16 v5, 0xd8, v5
	v_sub_nc_u16 v4, v4, v5
	v_lshrrev_b32_e32 v5, 16, v55
	s_wait_loadcnt 0x1
	v_lshrrev_b32_e32 v208, 16, v33
	v_lshrrev_b32_e32 v207, 16, v32
	;; [unrolled: 1-line block ×3, first 2 shown]
	s_wait_loadcnt 0x0
	v_lshrrev_b32_e32 v222, 16, v44
	v_lshrrev_b32_e32 v221, 16, v45
	v_mul_f16_e64 v10, v59, v208
	v_mul_f16_e64 v6, v55, v207
	;; [unrolled: 1-line block ×3, first 2 shown]
	v_lshrrev_b32_e32 v220, 16, v46
	s_delay_alu instid0(VALU_DEP_4)
	v_fmac_f16_e32 v10, v9, v33
	v_mul_f16_e64 v9, v9, v208
	v_fmac_f16_e32 v6, v5, v32
	v_mul_f16_e64 v5, v5, v207
	;; [unrolled: 2-line block ×3, first 2 shown]
	v_fma_f16 v9, v59, v33, -v9
	v_sub_f16_e32 v10, v11, v10
	v_fma_f16 v5, v55, v32, -v5
	v_sub_f16_e32 v8, v6, v8
	;; [unrolled: 2-line block ×3, first 2 shown]
	v_fma_f16 v11, v11, 2.0, -v10
	s_delay_alu instid0(VALU_DEP_4) | instskip(NEXT) | instid1(VALU_DEP_4)
	v_fma_f16 v6, v6, 2.0, -v8
	v_sub_f16_e32 v7, v5, v7
	s_delay_alu instid0(VALU_DEP_4) | instskip(NEXT) | instid1(VALU_DEP_3)
	v_sub_f16_e32 v8, v9, v8
	v_sub_f16_e32 v6, v11, v6
	s_delay_alu instid0(VALU_DEP_3) | instskip(NEXT) | instid1(VALU_DEP_3)
	v_fma_f16 v5, v5, 2.0, -v7
	v_fma_f16 v12, v9, 2.0, -v8
	;; [unrolled: 1-line block ×3, first 2 shown]
	v_add_f16_e32 v7, v10, v7
	v_fma_f16 v11, v11, 2.0, -v6
	s_delay_alu instid0(VALU_DEP_3) | instskip(NEXT) | instid1(VALU_DEP_3)
	v_sub_f16_e32 v5, v9, v5
	v_fma_f16 v10, v10, 2.0, -v7
	v_pack_b32_f16 v7, v8, v7
	v_lshrrev_b32_e32 v8, 16, v60
	s_delay_alu instid0(VALU_DEP_4) | instskip(NEXT) | instid1(VALU_DEP_4)
	v_fma_f16 v9, v9, 2.0, -v5
	v_pack_b32_f16 v10, v12, v10
	v_mul_lo_u16 v12, v4, 12
	v_pack_b32_f16 v5, v5, v6
	v_and_b32_e32 v4, 0xffff, v4
	v_pack_b32_f16 v9, v9, v11
	v_mul_lo_u16 v11, v2, 12
	v_and_b32_e32 v12, 0xffff, v12
	s_delay_alu instid0(VALU_DEP_4) | instskip(NEXT) | instid1(VALU_DEP_3)
	v_lshlrev_b32_e32 v4, 2, v4
	v_and_b32_e32 v11, 0xffff, v11
	s_delay_alu instid0(VALU_DEP_1)
	v_add_co_u32 v41, s2, s6, v11
	s_wait_alu 0xf1ff
	v_add_co_ci_u32_e64 v42, null, s7, 0, s2
	v_add_co_u32 v63, s2, s6, v12
	s_wait_alu 0xf1ff
	v_add_co_ci_u32_e64 v64, null, s7, 0, s2
	;; [unrolled: 3-line block ×3, first 2 shown]
	s_clause 0x3
	global_load_b96 v[53:55], v[39:40], off offset:840
	global_load_b96 v[50:52], v[47:48], off offset:840
	;; [unrolled: 1-line block ×4, first 2 shown]
	ds_load_2addr_b32 v[39:40], v96 offset0:32 offset1:176
	ds_load_2addr_b32 v[63:64], v128 offset1:144
	ds_load_2addr_b32 v[65:66], v95 offset0:96 offset1:240
	ds_load_2addr_b32 v[189:190], v123 offset0:64 offset1:208
	;; [unrolled: 1-line block ×4, first 2 shown]
	ds_load_2addr_b32 v[202:203], v126 offset1:144
	ds_load_2addr_b32 v[204:205], v91 offset0:96 offset1:240
	global_wb scope:SCOPE_SE
	s_wait_loadcnt_dscnt 0x0
	s_barrier_signal -1
	s_barrier_wait -1
	global_inv scope:SCOPE_SE
	ds_store_2addr_b32 v117, v9, v10 offset1:216
	ds_store_2addr_b32 v102, v5, v7 offset0:16 offset1:232
	v_lshrrev_b32_e32 v5, 16, v56
	v_lshrrev_b32_e32 v11, 16, v58
	s_add_nc_u64 s[2:3], s[4:5], 0x3600
	v_lshrrev_b32_e32 v1, 16, v200
	v_lshrrev_b32_e32 v219, 16, v53
	;; [unrolled: 1-line block ×6, first 2 shown]
	v_mul_f16_e64 v6, v5, v219
	v_mul_f16_e64 v7, v56, v219
	;; [unrolled: 1-line block ×6, first 2 shown]
	v_fma_f16 v6, v56, v53, -v6
	v_fma_f16 v9, v60, v54, -v9
	v_fmac_f16_e32 v7, v5, v53
	v_fma_f16 v12, v58, v55, -v12
	v_fmac_f16_e32 v10, v8, v54
	v_fmac_f16_e32 v13, v11, v55
	v_lshrrev_b32_e32 v5, 16, v62
	v_sub_f16_e32 v0, v62, v9
	v_sub_f16_e32 v9, v6, v12
	v_lshrrev_b32_e32 v223, 16, v52
	v_sub_f16_e32 v11, v7, v13
	v_sub_f16_e32 v10, v5, v10
	v_fma_f16 v8, v62, 2.0, -v0
	v_fma_f16 v6, v6, 2.0, -v9
	v_mul_f16_e64 v12, v190, v223
	v_fma_f16 v7, v7, 2.0, -v11
	v_fma_f16 v5, v5, 2.0, -v10
	v_sub_f16_e32 v11, v0, v11
	v_add_f16_e32 v9, v10, v9
	v_sub_f16_e32 v6, v8, v6
	v_lshrrev_b32_e32 v228, 16, v47
	v_sub_f16_e32 v7, v5, v7
	v_fma_f16 v0, v0, 2.0, -v11
	v_fma_f16 v10, v10, 2.0, -v9
	;; [unrolled: 1-line block ×3, first 2 shown]
	v_lshrrev_b32_e32 v227, 16, v48
	v_fma_f16 v5, v5, 2.0, -v7
	v_lshrrev_b32_e32 v226, 16, v49
	v_pack_b32_f16 v0, v0, v10
	v_lshrrev_b32_e32 v10, 16, v39
	v_lshrrev_b32_e32 v231, 16, v41
	v_pack_b32_f16 v5, v8, v5
	v_lshrrev_b32_e32 v8, 16, v189
	v_lshrrev_b32_e32 v230, 16, v42
	;; [unrolled: 1-line block ×3, first 2 shown]
	ds_store_2addr_b32 v177, v5, v0 offset1:216
	v_pack_b32_f16 v0, v11, v9
	v_pack_b32_f16 v5, v6, v7
	v_lshrrev_b32_e32 v6, 16, v65
	v_mul_f16_e64 v7, v65, v221
	v_mul_f16_e64 v9, v189, v220
	ds_store_2addr_b32 v182, v5, v0 offset0:16 offset1:232
	v_lshrrev_b32_e32 v0, 16, v63
	v_mul_f16_e64 v5, v63, v222
	v_fmac_f16_e32 v7, v6, v45
	v_mul_f16_e64 v6, v6, v221
	v_fmac_f16_e32 v9, v8, v46
	;; [unrolled: 2-line block ×3, first 2 shown]
	v_mul_f16_e64 v0, v0, v222
	v_fma_f16 v6, v65, v45, -v6
	v_sub_f16_e32 v7, v10, v7
	v_fma_f16 v8, v189, v46, -v8
	v_sub_f16_e32 v9, v5, v9
	;; [unrolled: 2-line block ×3, first 2 shown]
	v_fma_f16 v10, v10, 2.0, -v7
	v_mad_co_u64_u32 v[62:63], null, v38, 12, s[6:7]
	s_delay_alu instid0(VALU_DEP_4)
	v_sub_f16_e32 v8, v0, v8
	v_fma_f16 v5, v5, 2.0, -v9
	v_fma_f16 v11, v39, 2.0, -v6
	v_sub_f16_e32 v9, v6, v9
	v_add_nc_u32_e32 v189, 0xf00, v117
	v_fma_f16 v0, v0, 2.0, -v8
	v_sub_f16_e32 v5, v10, v5
	v_add_f16_e32 v8, v7, v8
	v_fma_f16 v6, v6, 2.0, -v9
	s_mul_u64 s[6:7], s[8:9], 0x900
	v_sub_f16_e32 v0, v11, v0
	v_fma_f16 v10, v10, 2.0, -v5
	v_fma_f16 v7, v7, 2.0, -v8
	s_delay_alu instid0(VALU_DEP_3) | instskip(SKIP_1) | instid1(VALU_DEP_3)
	v_fma_f16 v11, v11, 2.0, -v0
	v_pack_b32_f16 v0, v0, v5
	v_pack_b32_f16 v6, v6, v7
	;; [unrolled: 1-line block ×3, first 2 shown]
	v_lshrrev_b32_e32 v7, 16, v66
	v_pack_b32_f16 v10, v11, v10
	v_mul_f16_e64 v9, v66, v224
	ds_store_2addr_b32 v187, v0, v5 offset0:24 offset1:240
	v_lshrrev_b32_e32 v0, 16, v64
	ds_store_2addr_b32 v185, v10, v6 offset0:8 offset1:224
	v_lshrrev_b32_e32 v10, 16, v190
	v_mul_f16_e64 v6, v64, v225
	v_mul_f16_e64 v8, v7, v224
	;; [unrolled: 1-line block ×3, first 2 shown]
	v_fmac_f16_e32 v9, v7, v51
	v_mul_f16_e64 v11, v10, v223
	v_fmac_f16_e32 v6, v0, v50
	v_fma_f16 v8, v66, v51, -v8
	v_fma_f16 v5, v64, v50, -v5
	v_fmac_f16_e32 v12, v10, v52
	v_fma_f16 v11, v190, v52, -v11
	v_lshrrev_b32_e32 v7, 16, v40
	v_sub_f16_e32 v0, v40, v8
	s_delay_alu instid0(VALU_DEP_3) | instskip(NEXT) | instid1(VALU_DEP_3)
	v_sub_f16_e32 v10, v5, v11
	v_sub_f16_e32 v9, v7, v9
	;; [unrolled: 1-line block ×3, first 2 shown]
	s_delay_alu instid0(VALU_DEP_4) | instskip(NEXT) | instid1(VALU_DEP_4)
	v_fma_f16 v8, v40, 2.0, -v0
	v_fma_f16 v5, v5, 2.0, -v10
	s_delay_alu instid0(VALU_DEP_4) | instskip(NEXT) | instid1(VALU_DEP_4)
	v_fma_f16 v7, v7, 2.0, -v9
	v_fma_f16 v6, v6, 2.0, -v11
	v_add_f16_e32 v10, v9, v10
	s_delay_alu instid0(VALU_DEP_4) | instskip(NEXT) | instid1(VALU_DEP_3)
	v_sub_f16_e32 v5, v8, v5
	v_sub_f16_e32 v6, v7, v6
	s_delay_alu instid0(VALU_DEP_3) | instskip(NEXT) | instid1(VALU_DEP_3)
	v_fma_f16 v9, v9, 2.0, -v10
	v_fma_f16 v8, v8, 2.0, -v5
	s_delay_alu instid0(VALU_DEP_3) | instskip(NEXT) | instid1(VALU_DEP_1)
	v_fma_f16 v7, v7, 2.0, -v6
	v_pack_b32_f16 v7, v8, v7
	v_sub_f16_e32 v8, v0, v11
	s_delay_alu instid0(VALU_DEP_1) | instskip(NEXT) | instid1(VALU_DEP_1)
	v_fma_f16 v0, v0, 2.0, -v8
	v_pack_b32_f16 v0, v0, v9
	ds_store_2addr_b32 v193, v7, v0 offset1:216
	v_pack_b32_f16 v0, v5, v6
	v_pack_b32_f16 v5, v8, v10
	v_lshrrev_b32_e32 v6, 16, v204
	v_mul_f16_e64 v7, v204, v226
	v_lshrrev_b32_e32 v8, 16, v198
	ds_store_2addr_b32 v194, v0, v5 offset0:16 offset1:232
	v_mad_u16 v0, 0x360, v3, v2
	v_mul_f16_e64 v2, v200, v228
	v_lshrrev_b32_e32 v3, 16, v202
	v_mul_f16_e64 v5, v202, v227
	v_fmac_f16_e32 v7, v6, v49
	v_mul_f16_e64 v6, v6, v226
	v_fmac_f16_e32 v2, v1, v47
	;; [unrolled: 2-line block ×3, first 2 shown]
	v_mul_f16_e64 v3, v3, v227
	v_fma_f16 v6, v204, v49, -v6
	v_sub_f16_e32 v7, v2, v7
	v_fma_f16 v1, v200, v47, -v1
	v_sub_f16_e32 v5, v8, v5
	v_fma_f16 v3, v202, v48, -v3
	v_and_b32_e32 v0, 0xffff, v0
	v_fma_f16 v2, v2, 2.0, -v7
	v_sub_f16_e32 v6, v1, v6
	v_fma_f16 v8, v8, 2.0, -v5
	v_sub_f16_e64 v3, v198, v3
	v_lshlrev_b32_e32 v190, 2, v0
	v_add_nc_u32_e32 v200, 0x2f00, v4
	v_fma_f16 v1, v1, 2.0, -v6
	v_sub_f16_e32 v2, v8, v2
	v_fma_f16 v9, v198, 2.0, -v3
	v_sub_f16_e32 v7, v3, v7
	v_add_f16_e32 v6, v5, v6
	v_add_nc_u32_e32 v191, 0x680, v190
	v_fma_f16 v8, v8, 2.0, -v2
	v_sub_f16_e32 v1, v9, v1
	v_fma_f16 v3, v3, 2.0, -v7
	v_fma_f16 v5, v5, 2.0, -v6
	s_delay_alu instid0(VALU_DEP_3) | instskip(SKIP_1) | instid1(VALU_DEP_3)
	v_fma_f16 v9, v9, 2.0, -v1
	v_pack_b32_f16 v0, v1, v2
	v_pack_b32_f16 v3, v3, v5
	;; [unrolled: 1-line block ×3, first 2 shown]
	v_lshrrev_b32_e32 v7, 16, v205
	v_pack_b32_f16 v8, v9, v8
	v_mul_f16_e64 v2, v201, v231
	v_mul_f16_e64 v6, v203, v230
	ds_store_2addr_b32 v191, v0, v1 offset0:16 offset1:232
	v_lshrrev_b32_e32 v0, 16, v201
	ds_store_2addr_b32 v190, v8, v3 offset1:216
	v_lshrrev_b32_e32 v3, 16, v203
	v_mul_f16_e64 v8, v7, v229
	v_mul_f16_e64 v9, v205, v229
	;; [unrolled: 1-line block ×3, first 2 shown]
	v_fmac_f16_e32 v2, v0, v41
	v_mul_f16_e64 v5, v3, v230
	v_fma_f16 v8, v205, v43, -v8
	v_fmac_f16_e32 v6, v3, v42
	v_fma_f16 v1, v201, v41, -v1
	v_fmac_f16_e32 v9, v7, v43
	v_fma_f16 v5, v203, v42, -v5
	v_lshrrev_b32_e32 v3, 16, v199
	s_delay_alu instid0(VALU_DEP_4) | instskip(NEXT) | instid1(VALU_DEP_4)
	v_sub_f16_e32 v7, v1, v8
	v_sub_f16_e32 v8, v2, v9
	s_delay_alu instid0(VALU_DEP_4) | instskip(NEXT) | instid1(VALU_DEP_4)
	v_sub_f16_e64 v0, v199, v5
	v_sub_f16_e32 v6, v3, v6
	s_delay_alu instid0(VALU_DEP_4) | instskip(NEXT) | instid1(VALU_DEP_4)
	v_fma_f16 v1, v1, 2.0, -v7
	v_fma_f16 v2, v2, 2.0, -v8
	s_delay_alu instid0(VALU_DEP_4) | instskip(NEXT) | instid1(VALU_DEP_4)
	v_fma_f16 v5, v199, 2.0, -v0
	v_fma_f16 v3, v3, 2.0, -v6
	v_add_f16_e32 v7, v6, v7
	v_add_nc_u32_e32 v199, 0x2800, v4
	s_delay_alu instid0(VALU_DEP_4) | instskip(NEXT) | instid1(VALU_DEP_4)
	v_sub_f16_e32 v1, v5, v1
	v_sub_f16_e32 v2, v3, v2
	s_delay_alu instid0(VALU_DEP_4) | instskip(NEXT) | instid1(VALU_DEP_3)
	v_fma_f16 v6, v6, 2.0, -v7
	v_fma_f16 v5, v5, 2.0, -v1
	s_delay_alu instid0(VALU_DEP_3) | instskip(NEXT) | instid1(VALU_DEP_1)
	v_fma_f16 v3, v3, 2.0, -v2
	v_pack_b32_f16 v3, v5, v3
	v_sub_f16_e32 v5, v0, v8
	s_delay_alu instid0(VALU_DEP_1) | instskip(NEXT) | instid1(VALU_DEP_1)
	v_fma_f16 v0, v0, 2.0, -v5
	v_pack_b32_f16 v0, v0, v6
	ds_store_2addr_b32 v199, v3, v0 offset0:32 offset1:248
	v_pack_b32_f16 v0, v1, v2
	v_pack_b32_f16 v1, v5, v7
	ds_store_2addr_b32 v200, v0, v1 offset0:16 offset1:232
	global_wb scope:SCOPE_SE
	s_wait_dscnt 0x0
	s_barrier_signal -1
	s_barrier_wait -1
	global_inv scope:SCOPE_SE
	s_clause 0x1
	global_load_b96 v[38:40], v[35:36], off offset:3432
	global_load_b96 v[35:37], v[62:63], off offset:3432
	ds_load_2addr_b32 v[56:57], v98 offset0:96 offset1:240
	s_wait_dscnt 0x0
	v_lshrrev_b32_e32 v0, 16, v56
	v_lshrrev_b32_e32 v2, 16, v57
	s_wait_loadcnt 0x1
	v_lshrrev_b32_e32 v203, 16, v38
	s_wait_loadcnt 0x0
	v_lshrrev_b32_e32 v198, 16, v35
	v_lshrrev_b32_e32 v204, 16, v39
	v_lshrrev_b32_e32 v201, 16, v36
	v_lshrrev_b32_e32 v205, 16, v40
	v_mul_f16_e64 v1, v0, v203
	v_mul_f16_e64 v3, v2, v198
	v_mul_f16_e64 v4, v56, v203
	v_mul_f16_e64 v5, v57, v198
	v_lshrrev_b32_e32 v202, 16, v37
	v_fma_f16 v1, v56, v38, -v1
	v_fma_f16 v3, v57, v35, -v3
	ds_load_2addr_b32 v[56:57], v127 offset0:64 offset1:208
	v_fmac_f16_e32 v4, v0, v38
	v_fmac_f16_e32 v5, v2, v35
	s_wait_dscnt 0x0
	v_lshrrev_b32_e32 v6, 16, v56
	v_lshrrev_b32_e32 v8, 16, v57
	v_mul_f16_e64 v10, v56, v204
	v_mul_f16_e64 v11, v57, v201
	s_delay_alu instid0(VALU_DEP_4) | instskip(NEXT) | instid1(VALU_DEP_4)
	v_mul_f16_e64 v7, v6, v204
	v_mul_f16_e64 v9, v8, v201
	s_delay_alu instid0(VALU_DEP_4) | instskip(NEXT) | instid1(VALU_DEP_4)
	v_fmac_f16_e32 v10, v6, v39
	v_fmac_f16_e32 v11, v8, v36
	s_delay_alu instid0(VALU_DEP_4) | instskip(NEXT) | instid1(VALU_DEP_4)
	v_fma_f16 v7, v56, v39, -v7
	v_fma_f16 v9, v57, v36, -v9
	ds_load_2addr_b32 v[56:57], v94 offset0:32 offset1:176
	s_wait_dscnt 0x0
	v_lshrrev_b32_e32 v12, 16, v56
	v_lshrrev_b32_e32 v58, 16, v57
	v_mul_f16_e64 v60, v56, v205
	v_mul_f16_e64 v61, v57, v202
	s_delay_alu instid0(VALU_DEP_4) | instskip(NEXT) | instid1(VALU_DEP_4)
	v_mul_f16_e64 v13, v12, v205
	v_mul_f16_e64 v59, v58, v202
	s_delay_alu instid0(VALU_DEP_4) | instskip(NEXT) | instid1(VALU_DEP_4)
	v_fmac_f16_e32 v60, v12, v40
	v_fmac_f16_e32 v61, v58, v37
	s_delay_alu instid0(VALU_DEP_4) | instskip(NEXT) | instid1(VALU_DEP_4)
	v_fma_f16 v13, v56, v40, -v13
	v_fma_f16 v59, v57, v37, -v59
	ds_load_2addr_b32 v[56:57], v117 offset1:144
	ds_load_2addr_b32 v[64:65], v96 offset0:32 offset1:176
	ds_load_2addr_b32 v[66:67], v128 offset1:144
	ds_load_2addr_b32 v[237:238], v95 offset0:96 offset1:240
	ds_load_2addr_b32 v[239:240], v123 offset0:64 offset1:208
	;; [unrolled: 1-line block ×4, first 2 shown]
	ds_load_2addr_b32 v[248:249], v126 offset1:144
	ds_load_2addr_b32 v[250:251], v91 offset0:96 offset1:240
	v_sub_f16_e32 v12, v1, v13
	v_sub_f16_e32 v13, v4, v60
	s_delay_alu instid0(VALU_DEP_2) | instskip(NEXT) | instid1(VALU_DEP_2)
	v_fma_f16 v1, v1, 2.0, -v12
	v_fma_f16 v4, v4, 2.0, -v13
	s_wait_dscnt 0x8
	v_lshrrev_b32_e32 v6, 16, v56
	v_sub_f16_e32 v0, v56, v7
	v_lshrrev_b32_e32 v7, 16, v57
	v_sub_f16_e32 v2, v57, v9
	s_delay_alu instid0(VALU_DEP_4) | instskip(NEXT) | instid1(VALU_DEP_4)
	v_sub_f16_e32 v10, v6, v10
	v_fma_f16 v8, v56, 2.0, -v0
	v_sub_f16_e32 v13, v0, v13
	s_delay_alu instid0(VALU_DEP_4) | instskip(NEXT) | instid1(VALU_DEP_4)
	v_fma_f16 v9, v57, 2.0, -v2
	v_fma_f16 v6, v6, 2.0, -v10
	v_add_f16_e32 v12, v10, v12
	v_sub_f16_e32 v1, v8, v1
	v_fma_f16 v0, v0, 2.0, -v13
	s_delay_alu instid0(VALU_DEP_4) | instskip(NEXT) | instid1(VALU_DEP_4)
	v_sub_f16_e32 v4, v6, v4
	v_fma_f16 v10, v10, 2.0, -v12
	s_delay_alu instid0(VALU_DEP_4) | instskip(SKIP_1) | instid1(VALU_DEP_4)
	v_fma_f16 v8, v8, 2.0, -v1
	v_pack_b32_f16 v12, v13, v12
	v_fma_f16 v6, v6, 2.0, -v4
	s_delay_alu instid0(VALU_DEP_4) | instskip(SKIP_2) | instid1(VALU_DEP_4)
	v_pack_b32_f16 v0, v0, v10
	v_pack_b32_f16 v1, v1, v4
	v_sub_f16_e32 v10, v5, v61
	v_pack_b32_f16 v4, v8, v6
	v_sub_f16_e32 v6, v7, v11
	v_sub_f16_e32 v8, v3, v59
	s_delay_alu instid0(VALU_DEP_4) | instskip(NEXT) | instid1(VALU_DEP_3)
	v_fma_f16 v5, v5, 2.0, -v10
	v_fma_f16 v7, v7, 2.0, -v6
	s_delay_alu instid0(VALU_DEP_3) | instskip(NEXT) | instid1(VALU_DEP_2)
	v_fma_f16 v3, v3, 2.0, -v8
	v_sub_f16_e32 v5, v7, v5
	s_delay_alu instid0(VALU_DEP_2) | instskip(NEXT) | instid1(VALU_DEP_2)
	v_sub_f16_e32 v3, v9, v3
	v_fma_f16 v7, v7, 2.0, -v5
	s_delay_alu instid0(VALU_DEP_2) | instskip(NEXT) | instid1(VALU_DEP_1)
	v_fma_f16 v9, v9, 2.0, -v3
	v_pack_b32_f16 v7, v9, v7
	ds_store_b32 v117, v0 offset:3456
	ds_store_b32 v117, v12 offset:10368
	;; [unrolled: 1-line block ×3, first 2 shown]
	ds_store_2addr_b32 v117, v4, v7 offset1:144
	s_clause 0x1
	global_load_b96 v[56:58], v[62:63], off offset:5160
	global_load_b96 v[59:61], v[62:63], off offset:6888
	v_sub_f16_e32 v0, v2, v10
	v_add_f16_e32 v1, v6, v8
	s_wait_dscnt 0x8
	v_lshrrev_b32_e32 v7, 16, v239
	v_lshrrev_b32_e32 v9, 16, v64
	v_fma_f16 v2, v2, 2.0, -v0
	v_fma_f16 v4, v6, 2.0, -v1
	v_pack_b32_f16 v0, v0, v1
	s_delay_alu instid0(VALU_DEP_2)
	v_pack_b32_f16 v1, v2, v4
	v_pack_b32_f16 v2, v3, v5
	v_lshrrev_b32_e32 v3, 16, v66
	v_lshrrev_b32_e32 v5, 16, v237
	ds_store_b32 v117, v2 offset:7488
	ds_store_b32 v117, v0 offset:10944
	v_lshrrev_b32_e32 v0, 16, v67
	s_wait_loadcnt 0x1
	v_lshrrev_b32_e32 v234, 16, v56
	v_lshrrev_b32_e32 v235, 16, v57
	;; [unrolled: 1-line block ×3, first 2 shown]
	s_wait_loadcnt 0x0
	v_lshrrev_b32_e32 v236, 16, v60
	v_lshrrev_b32_e32 v233, 16, v61
	v_mul_f16_e64 v4, v66, v234
	v_mul_f16_e64 v6, v237, v235
	;; [unrolled: 1-line block ×3, first 2 shown]
	s_delay_alu instid0(VALU_DEP_3) | instskip(SKIP_1) | instid1(VALU_DEP_4)
	v_fmac_f16_e32 v4, v3, v56
	v_mul_f16_e64 v3, v3, v234
	v_fmac_f16_e32 v6, v5, v57
	v_mul_f16_e64 v5, v5, v235
	;; [unrolled: 2-line block ×3, first 2 shown]
	v_fma_f16 v3, v66, v56, -v3
	v_sub_f16_e32 v6, v9, v6
	v_fma_f16 v5, v237, v57, -v5
	v_sub_f16_e32 v8, v4, v8
	v_fma_f16 v7, v239, v58, -v7
	v_lshrrev_b32_e32 v237, 16, v59
	v_mul_f16_e64 v66, v238, v236
	v_sub_f16_e32 v5, v64, v5
	v_fma_f16 v4, v4, 2.0, -v8
	v_sub_f16_e32 v7, v3, v7
	v_mul_f16_e64 v2, v67, v237
	v_mul_f16_e64 v239, v240, v233
	v_sub_f16_e32 v10, v5, v8
	s_delay_alu instid0(VALU_DEP_4) | instskip(NEXT) | instid1(VALU_DEP_4)
	v_add_f16_e32 v11, v6, v7
	v_fmac_f16_e32 v2, v0, v59
	v_fma_f16 v3, v3, 2.0, -v7
	s_delay_alu instid0(VALU_DEP_4) | instskip(SKIP_3) | instid1(VALU_DEP_3)
	v_fma_f16 v12, v5, 2.0, -v10
	v_fma_f16 v5, v64, 2.0, -v5
	;; [unrolled: 1-line block ×3, first 2 shown]
	v_lshrrev_b32_e32 v7, 16, v65
	v_sub_f16_e32 v3, v5, v3
	s_delay_alu instid0(VALU_DEP_3) | instskip(NEXT) | instid1(VALU_DEP_2)
	v_pack_b32_f16 v12, v12, v13
	v_fma_f16 v5, v5, 2.0, -v3
	ds_store_2addr_b32 v189, v1, v12 offset0:48 offset1:192
	v_mul_f16_e64 v1, v0, v237
	v_lshrrev_b32_e32 v12, 16, v238
	v_fma_f16 v0, v9, 2.0, -v6
	s_delay_alu instid0(VALU_DEP_3) | instskip(NEXT) | instid1(VALU_DEP_3)
	v_fma_f16 v1, v67, v59, -v1
	v_mul_f16_e64 v13, v12, v236
	v_lshrrev_b32_e32 v67, 16, v240
	s_delay_alu instid0(VALU_DEP_4) | instskip(SKIP_1) | instid1(VALU_DEP_4)
	v_sub_f16_e32 v4, v0, v4
	v_fmac_f16_e32 v66, v12, v60
	v_fma_f16 v13, v238, v60, -v13
	s_delay_alu instid0(VALU_DEP_4) | instskip(SKIP_2) | instid1(VALU_DEP_4)
	v_mul_f16_e64 v238, v67, v233
	v_fmac_f16_e64 v239, v67, v61
	v_fma_f16 v0, v0, 2.0, -v4
	v_sub_f16_e32 v6, v65, v13
	s_delay_alu instid0(VALU_DEP_4) | instskip(NEXT) | instid1(VALU_DEP_4)
	v_fma_f16 v238, v240, v61, -v238
	v_sub_f16_e64 v12, v2, v239
	s_delay_alu instid0(VALU_DEP_4) | instskip(SKIP_4) | instid1(VALU_DEP_4)
	v_pack_b32_f16 v0, v5, v0
	v_sub_f16_e32 v5, v7, v66
	v_fma_f16 v8, v65, 2.0, -v6
	v_sub_f16_e64 v9, v1, v238
	v_fma_f16 v2, v2, 2.0, -v12
	v_fma_f16 v7, v7, 2.0, -v5
	s_delay_alu instid0(VALU_DEP_3) | instskip(NEXT) | instid1(VALU_DEP_2)
	v_fma_f16 v1, v1, 2.0, -v9
	v_sub_f16_e32 v2, v7, v2
	s_delay_alu instid0(VALU_DEP_2) | instskip(NEXT) | instid1(VALU_DEP_2)
	v_sub_f16_e32 v1, v8, v1
	v_fma_f16 v7, v7, 2.0, -v2
	s_delay_alu instid0(VALU_DEP_2) | instskip(SKIP_2) | instid1(VALU_DEP_3)
	v_fma_f16 v8, v8, 2.0, -v1
	v_pack_b32_f16 v1, v1, v2
	v_add_f16_e32 v2, v5, v9
	v_pack_b32_f16 v7, v8, v7
	ds_store_2addr_b32 v96, v0, v7 offset0:32 offset1:176
	v_pack_b32_f16 v0, v3, v4
	s_wait_dscnt 0xb
	v_lshrrev_b32_e32 v7, 16, v244
	ds_store_2addr_b32 v95, v0, v1 offset0:96 offset1:240
	v_sub_f16_e32 v1, v6, v12
	v_pack_b32_f16 v0, v10, v11
	s_wait_dscnt 0xa
	v_lshrrev_b32_e32 v12, 16, v249
	s_delay_alu instid0(VALU_DEP_3)
	v_pack_b32_f16 v3, v1, v2
	ds_store_2addr_b32 v123, v0, v3 offset0:64 offset1:208
	s_clause 0x1
	global_load_b96 v[65:67], v[62:63], off offset:8616
	global_load_b96 v[62:64], v[62:63], off offset:10344
	v_fma_f16 v0, v6, 2.0, -v1
	v_fma_f16 v1, v5, 2.0, -v2
	v_lshrrev_b32_e32 v3, 16, v248
	s_wait_dscnt 0xa
	v_lshrrev_b32_e32 v5, 16, v250
	s_delay_alu instid0(VALU_DEP_3)
	v_pack_b32_f16 v0, v0, v1
	v_lshrrev_b32_e32 v1, 16, v246
	s_wait_loadcnt 0x1
	v_lshrrev_b32_e32 v242, 16, v65
	v_lshrrev_b32_e32 v243, 16, v66
	;; [unrolled: 1-line block ×3, first 2 shown]
	s_wait_loadcnt 0x0
	v_lshrrev_b32_e32 v241, 16, v62
	v_lshrrev_b32_e32 v239, 16, v63
	v_mul_f16_e64 v2, v246, v242
	v_mul_f16_e64 v4, v248, v243
	;; [unrolled: 1-line block ×3, first 2 shown]
	v_lshrrev_b32_e32 v238, 16, v64
	v_mul_f16_e64 v13, v12, v239
	v_fmac_f16_e32 v2, v1, v65
	v_mul_f16_e64 v1, v1, v242
	v_fmac_f16_e32 v4, v3, v66
	;; [unrolled: 2-line block ×3, first 2 shown]
	v_mul_f16_e64 v5, v5, v240
	v_fma_f16 v1, v246, v65, -v1
	v_sub_f16_e32 v4, v7, v4
	v_fma_f16 v3, v248, v66, -v3
	v_sub_f16_e32 v6, v2, v6
	v_fma_f16 v5, v250, v67, -v5
	v_fma_f16 v13, v249, v63, -v13
	v_mul_f16_e64 v246, v249, v239
	v_sub_f16_e64 v3, v244, v3
	v_fma_f16 v2, v2, 2.0, -v6
	v_sub_f16_e32 v5, v1, v5
	v_mul_f16_e64 v249, v251, v238
	v_fmac_f16_e64 v246, v12, v63
	v_sub_f16_e32 v8, v3, v6
	s_delay_alu instid0(VALU_DEP_4) | instskip(SKIP_2) | instid1(VALU_DEP_4)
	v_add_f16_e32 v9, v4, v5
	v_fma_f16 v1, v1, 2.0, -v5
	v_lshrrev_b32_e32 v5, 16, v245
	v_fma_f16 v10, v3, 2.0, -v8
	v_fma_f16 v3, v244, 2.0, -v3
	;; [unrolled: 1-line block ×3, first 2 shown]
	s_delay_alu instid0(VALU_DEP_2) | instskip(NEXT) | instid1(VALU_DEP_2)
	v_sub_f16_e32 v1, v3, v1
	v_pack_b32_f16 v10, v10, v11
	v_mul_f16_e64 v11, v247, v241
	s_delay_alu instid0(VALU_DEP_3) | instskip(SKIP_2) | instid1(VALU_DEP_1)
	v_fma_f16 v3, v3, 2.0, -v1
	ds_store_2addr_b32 v131, v0, v10 offset0:16 offset1:160
	v_lshrrev_b32_e32 v0, 16, v247
	v_mul_f16_e64 v10, v0, v241
	v_fmac_f16_e32 v11, v0, v62
	v_fma_f16 v0, v7, 2.0, -v4
	v_sub_f16_e64 v4, v245, v13
	s_delay_alu instid0(VALU_DEP_4) | instskip(SKIP_1) | instid1(VALU_DEP_4)
	v_fma_f16 v10, v247, v62, -v10
	v_lshrrev_b32_e32 v247, 16, v251
	v_sub_f16_e32 v2, v0, v2
	s_delay_alu instid0(VALU_DEP_4) | instskip(NEXT) | instid1(VALU_DEP_3)
	v_fma_f16 v6, v245, 2.0, -v4
	v_mul_f16_e64 v248, v247, v238
	v_fmac_f16_e64 v249, v247, v64
	s_delay_alu instid0(VALU_DEP_4) | instskip(NEXT) | instid1(VALU_DEP_3)
	v_fma_f16 v0, v0, 2.0, -v2
	v_fma_f16 v248, v251, v64, -v248
	s_delay_alu instid0(VALU_DEP_3) | instskip(NEXT) | instid1(VALU_DEP_3)
	v_sub_f16_e64 v12, v11, v249
	v_pack_b32_f16 v0, v3, v0
	v_sub_f16_e64 v3, v5, v246
	s_delay_alu instid0(VALU_DEP_4) | instskip(NEXT) | instid1(VALU_DEP_4)
	v_sub_f16_e64 v7, v10, v248
	v_fma_f16 v11, v11, 2.0, -v12
	s_delay_alu instid0(VALU_DEP_3) | instskip(NEXT) | instid1(VALU_DEP_3)
	v_fma_f16 v5, v5, 2.0, -v3
	v_fma_f16 v10, v10, 2.0, -v7
	s_delay_alu instid0(VALU_DEP_2) | instskip(NEXT) | instid1(VALU_DEP_2)
	v_sub_f16_e32 v11, v5, v11
	v_sub_f16_e32 v10, v6, v10
	s_delay_alu instid0(VALU_DEP_2) | instskip(NEXT) | instid1(VALU_DEP_2)
	v_fma_f16 v5, v5, 2.0, -v11
	v_fma_f16 v6, v6, 2.0, -v10
	s_delay_alu instid0(VALU_DEP_1)
	v_pack_b32_f16 v5, v6, v5
	ds_store_2addr_b32 v130, v0, v5 offset0:64 offset1:208
	v_pack_b32_f16 v0, v1, v2
	v_pack_b32_f16 v1, v10, v11
	v_add_f16_e32 v2, v3, v7
	ds_store_2addr_b32 v126, v0, v1 offset1:144
	v_sub_f16_e32 v1, v4, v12
	v_pack_b32_f16 v0, v8, v9
	s_delay_alu instid0(VALU_DEP_2) | instskip(SKIP_3) | instid1(VALU_DEP_1)
	v_pack_b32_f16 v5, v1, v2
	ds_store_2addr_b32 v91, v0, v5 offset0:96 offset1:240
	v_fma_f16 v0, v4, 2.0, -v1
	v_fma_f16 v1, v3, 2.0, -v2
	v_pack_b32_f16 v0, v0, v1
	ds_store_b32 v117, v0 offset:6336
	global_wb scope:SCOPE_SE
	s_wait_dscnt 0x0
	s_barrier_signal -1
	s_barrier_wait -1
	global_inv scope:SCOPE_SE
	s_clause 0x1
	global_load_b32 v0, v117, s[4:5] offset:13824
	global_load_b32 v1, v117, s[2:3] offset:13248
	ds_load_2addr_b32 v[244:245], v117 offset1:144
	s_wait_dscnt 0x0
	v_lshrrev_b32_e32 v3, 16, v244
	v_lshrrev_b32_e32 v6, 16, v245
	s_wait_loadcnt 0x1
	v_lshrrev_b32_e32 v2, 16, v0
	s_delay_alu instid0(VALU_DEP_1) | instskip(SKIP_1) | instid1(VALU_DEP_2)
	v_mul_f16_e64 v4, v244, v2
	v_mul_f16_e32 v2, v3, v2
	v_fmac_f16_e32 v4, v3, v0
	s_delay_alu instid0(VALU_DEP_2)
	v_fma_f16 v0, v244, v0, -v2
	s_clause 0x2
	global_load_b32 v2, v117, s[2:3] offset:576
	global_load_b32 v3, v117, s[2:3] offset:1152
	;; [unrolled: 1-line block ×3, first 2 shown]
	v_pack_b32_f16 v0, v0, v4
	ds_store_b32 v117, v0
	s_wait_loadcnt 0x2
	v_lshrrev_b32_e32 v7, 16, v2
	s_wait_loadcnt 0x1
	v_lshrrev_b32_e32 v0, 16, v3
	s_delay_alu instid0(VALU_DEP_2) | instskip(SKIP_1) | instid1(VALU_DEP_2)
	v_mul_f16_e32 v8, v6, v7
	v_mul_f16_e64 v7, v245, v7
	v_fma_f16 v8, v245, v2, -v8
	ds_load_2addr_b32 v[244:245], v96 offset0:32 offset1:176
	v_fmac_f16_e32 v7, v6, v2
	s_wait_dscnt 0x0
	v_lshrrev_b32_e32 v2, 16, v244
	v_mul_f16_e64 v4, v244, v0
	s_delay_alu instid0(VALU_DEP_2) | instskip(NEXT) | instid1(VALU_DEP_2)
	v_mul_f16_e32 v0, v2, v0
	v_fmac_f16_e32 v4, v2, v3
	v_pack_b32_f16 v2, v8, v7
	s_delay_alu instid0(VALU_DEP_3) | instskip(SKIP_1) | instid1(VALU_DEP_2)
	v_fma_f16 v0, v244, v3, -v0
	v_add_nc_u32_e32 v3, 0x200, v117
	v_pack_b32_f16 v0, v0, v4
	ds_store_2addr_b32 v3, v2, v0 offset0:16 offset1:160
	s_clause 0x3
	global_load_b32 v0, v117, s[2:3] offset:2880
	global_load_b32 v2, v117, s[2:3] offset:3456
	;; [unrolled: 1-line block ×4, first 2 shown]
	ds_load_2addr_b32 v[246:247], v130 offset0:64 offset1:208
	ds_load_2addr_b32 v[248:249], v98 offset0:96 offset1:240
	s_wait_dscnt 0x1
	v_lshrrev_b32_e32 v7, 16, v247
	s_wait_dscnt 0x0
	v_lshrrev_b32_e32 v9, 16, v248
	s_wait_loadcnt 0x3
	v_lshrrev_b32_e32 v6, 16, v0
	s_delay_alu instid0(VALU_DEP_1) | instskip(SKIP_1) | instid1(VALU_DEP_2)
	v_mul_f16_e64 v8, v247, v6
	v_mul_f16_e32 v6, v7, v6
	v_fmac_f16_e32 v8, v7, v0
	s_wait_loadcnt 0x2
	v_lshrrev_b32_e32 v7, 16, v2
	s_delay_alu instid0(VALU_DEP_3) | instskip(NEXT) | instid1(VALU_DEP_2)
	v_fma_f16 v0, v247, v0, -v6
	v_mul_f16_e64 v10, v248, v7
	v_mul_f16_e32 v7, v9, v7
	s_delay_alu instid0(VALU_DEP_3) | instskip(NEXT) | instid1(VALU_DEP_3)
	v_pack_b32_f16 v0, v0, v8
	v_fmac_f16_e32 v10, v9, v2
	s_delay_alu instid0(VALU_DEP_3) | instskip(NEXT) | instid1(VALU_DEP_1)
	v_fma_f16 v2, v248, v2, -v7
	v_pack_b32_f16 v2, v2, v10
	ds_store_2addr_b32 v132, v0, v2 offset0:80 offset1:224
	s_clause 0x3
	global_load_b32 v0, v117, s[2:3] offset:7488
	global_load_b32 v2, v117, s[2:3] offset:8064
	;; [unrolled: 1-line block ×4, first 2 shown]
	ds_load_2addr_b32 v[247:248], v127 offset0:64 offset1:208
	ds_load_2addr_b32 v[250:251], v95 offset0:96 offset1:240
	s_wait_dscnt 0x1
	v_lshrrev_b32_e32 v9, 16, v248
	s_wait_dscnt 0x0
	v_lshrrev_b32_e32 v11, 16, v250
	s_wait_loadcnt 0x3
	v_lshrrev_b32_e32 v8, 16, v0
	s_delay_alu instid0(VALU_DEP_1) | instskip(SKIP_1) | instid1(VALU_DEP_2)
	v_mul_f16_e64 v10, v248, v8
	v_mul_f16_e32 v8, v9, v8
	v_fmac_f16_e32 v10, v9, v0
	s_wait_loadcnt 0x2
	v_lshrrev_b32_e32 v9, 16, v2
	s_delay_alu instid0(VALU_DEP_3) | instskip(NEXT) | instid1(VALU_DEP_2)
	v_fma_f16 v0, v248, v0, -v8
	v_mul_f16_e64 v12, v250, v9
	v_mul_f16_e32 v9, v11, v9
	s_delay_alu instid0(VALU_DEP_3) | instskip(NEXT) | instid1(VALU_DEP_3)
	v_pack_b32_f16 v0, v0, v10
	v_fmac_f16_e32 v12, v11, v2
	s_delay_alu instid0(VALU_DEP_3) | instskip(NEXT) | instid1(VALU_DEP_1)
	v_fma_f16 v2, v250, v2, -v9
	v_pack_b32_f16 v2, v2, v12
	ds_store_2addr_b32 v133, v0, v2 offset0:80 offset1:224
	s_clause 0x2
	global_load_b32 v0, v117, s[2:3] offset:9792
	global_load_b32 v2, v117, s[2:3] offset:10368
	global_load_b32 v8, v117, s[2:3] offset:10944
	ds_load_2addr_b32 v[132:133], v126 offset1:144
	ds_load_2addr_b32 v[252:253], v94 offset0:32 offset1:176
	s_wait_dscnt 0x1
	v_lshrrev_b32_e32 v10, 16, v133
	s_wait_dscnt 0x0
	v_lshrrev_b32_e32 v12, 16, v252
	s_wait_loadcnt 0x2
	v_lshrrev_b32_e32 v9, 16, v0
	s_delay_alu instid0(VALU_DEP_1) | instskip(SKIP_1) | instid1(VALU_DEP_2)
	v_mul_f16_e64 v11, v133, v9
	v_mul_f16_e32 v9, v10, v9
	v_fmac_f16_e32 v11, v10, v0
	s_wait_loadcnt 0x1
	v_lshrrev_b32_e32 v10, 16, v2
	s_delay_alu instid0(VALU_DEP_3) | instskip(NEXT) | instid1(VALU_DEP_2)
	v_fma_f16 v0, v133, v0, -v9
	v_mul_f16_e64 v13, v252, v10
	v_mul_f16_e32 v10, v12, v10
	s_delay_alu instid0(VALU_DEP_3) | instskip(NEXT) | instid1(VALU_DEP_3)
	v_pack_b32_f16 v0, v0, v11
	v_fmac_f16_e32 v13, v12, v2
	s_delay_alu instid0(VALU_DEP_3) | instskip(NEXT) | instid1(VALU_DEP_1)
	v_fma_f16 v2, v252, v2, -v10
	v_pack_b32_f16 v2, v2, v13
	ds_store_2addr_b32 v134, v0, v2 offset0:16 offset1:160
	s_clause 0x2
	global_load_b32 v0, v117, s[2:3] offset:12096
	global_load_b32 v2, v117, s[2:3] offset:12672
	;; [unrolled: 1-line block ×3, first 2 shown]
	ds_load_2addr_b32 v[133:134], v123 offset0:64 offset1:208
	ds_load_2addr_b32 v[254:255], v91 offset0:96 offset1:240
	s_wait_dscnt 0x1
	v_lshrrev_b32_e32 v11, 16, v134
	s_wait_dscnt 0x0
	v_lshrrev_b32_e32 v13, 16, v254
	s_wait_loadcnt 0x2
	v_lshrrev_b32_e32 v10, 16, v0
	s_delay_alu instid0(VALU_DEP_1) | instskip(SKIP_1) | instid1(VALU_DEP_2)
	v_mul_f16_e64 v12, v134, v10
	v_mul_f16_e32 v10, v11, v10
	v_fmac_f16_e32 v12, v11, v0
	s_wait_loadcnt 0x1
	v_lshrrev_b32_e32 v11, 16, v2
	s_delay_alu instid0(VALU_DEP_3) | instskip(NEXT) | instid1(VALU_DEP_2)
	v_fma_f16 v0, v134, v0, -v10
	v_mul_f16_e64 v244, v254, v11
	v_mul_f16_e32 v11, v13, v11
	s_delay_alu instid0(VALU_DEP_3) | instskip(NEXT) | instid1(VALU_DEP_3)
	v_pack_b32_f16 v0, v0, v12
	v_fmac_f16_e64 v244, v13, v2
	s_delay_alu instid0(VALU_DEP_3) | instskip(NEXT) | instid1(VALU_DEP_1)
	v_fma_f16 v2, v254, v2, -v11
	v_pack_b32_f16 v2, v2, v244
	ds_store_2addr_b32 v135, v0, v2 offset0:80 offset1:224
	v_lshrrev_b32_e32 v0, 16, v4
	v_lshrrev_b32_e32 v2, 16, v246
	ds_load_2addr_b32 v[134:135], v97 offset0:32 offset1:176
	v_mul_f16_e32 v10, v2, v0
	v_mul_f16_e64 v0, v246, v0
	s_delay_alu instid0(VALU_DEP_2) | instskip(NEXT) | instid1(VALU_DEP_2)
	v_fma_f16 v10, v246, v4, -v10
	v_fmac_f16_e32 v0, v2, v4
	v_lshrrev_b32_e32 v2, 16, v5
	v_lshrrev_b32_e32 v4, 16, v245
	s_delay_alu instid0(VALU_DEP_3) | instskip(NEXT) | instid1(VALU_DEP_2)
	v_pack_b32_f16 v0, v10, v0
	v_mul_f16_e32 v11, v4, v2
	v_mul_f16_e64 v2, v245, v2
	s_wait_dscnt 0x0
	v_lshrrev_b32_e32 v10, 16, v135
	s_delay_alu instid0(VALU_DEP_3) | instskip(NEXT) | instid1(VALU_DEP_3)
	v_fma_f16 v11, v245, v5, -v11
	v_fmac_f16_e32 v2, v4, v5
	v_add_nc_u32_e32 v4, 0x600, v117
	s_delay_alu instid0(VALU_DEP_2) | instskip(SKIP_4) | instid1(VALU_DEP_1)
	v_pack_b32_f16 v2, v11, v2
	ds_store_2addr_b32 v4, v2, v0 offset0:48 offset1:192
	global_load_b32 v0, v117, s[2:3] offset:6336
	v_lshrrev_b32_e32 v2, 16, v7
	v_lshrrev_b32_e32 v4, 16, v247
	v_mul_f16_e32 v5, v4, v2
	v_mul_f16_e64 v2, v247, v2
	s_delay_alu instid0(VALU_DEP_2) | instskip(NEXT) | instid1(VALU_DEP_2)
	v_fma_f16 v5, v247, v7, -v5
	v_fmac_f16_e32 v2, v4, v7
	global_load_b32 v4, v117, s[2:3] offset:5760
	v_pack_b32_f16 v2, v5, v2
	v_add_nc_u32_e32 v5, 0x1800, v117
	s_wait_loadcnt 0x1
	v_lshrrev_b32_e32 v7, 16, v0
	s_delay_alu instid0(VALU_DEP_1) | instskip(SKIP_1) | instid1(VALU_DEP_2)
	v_mul_f16_e64 v11, v135, v7
	v_mul_f16_e32 v7, v10, v7
	v_fmac_f16_e32 v11, v10, v0
	s_delay_alu instid0(VALU_DEP_2) | instskip(NEXT) | instid1(VALU_DEP_1)
	v_fma_f16 v0, v135, v0, -v7
	v_pack_b32_f16 v0, v0, v11
	ds_store_2addr_b32 v5, v0, v2 offset0:48 offset1:192
	global_load_b32 v0, v117, s[2:3] offset:9216
	v_lshrrev_b32_e32 v5, 16, v132
	s_wait_loadcnt 0x0
	v_lshrrev_b32_e32 v2, 16, v0
	s_delay_alu instid0(VALU_DEP_1) | instskip(SKIP_1) | instid1(VALU_DEP_2)
	v_mul_f16_e32 v7, v5, v2
	v_mul_f16_e64 v2, v132, v2
	v_fma_f16 v7, v132, v0, -v7
	s_delay_alu instid0(VALU_DEP_2) | instskip(SKIP_2) | instid1(VALU_DEP_3)
	v_fmac_f16_e32 v2, v5, v0
	v_lshrrev_b32_e32 v0, 16, v6
	v_lshrrev_b32_e32 v5, 16, v251
	v_pack_b32_f16 v2, v7, v2
	s_delay_alu instid0(VALU_DEP_2) | instskip(SKIP_1) | instid1(VALU_DEP_2)
	v_mul_f16_e32 v10, v5, v0
	v_mul_f16_e64 v0, v251, v0
	v_fma_f16 v10, v251, v6, -v10
	s_delay_alu instid0(VALU_DEP_2) | instskip(SKIP_2) | instid1(VALU_DEP_3)
	v_fmac_f16_e32 v0, v5, v6
	v_add_nc_u32_e32 v5, 0x2100, v117
	v_lshrrev_b32_e32 v6, 16, v253
	v_pack_b32_f16 v0, v10, v0
	ds_store_2addr_b32 v5, v0, v2 offset0:48 offset1:192
	v_lshrrev_b32_e32 v0, 16, v9
	v_lshrrev_b32_e32 v2, 16, v133
	s_delay_alu instid0(VALU_DEP_1) | instskip(SKIP_1) | instid1(VALU_DEP_2)
	v_mul_f16_e32 v5, v2, v0
	v_mul_f16_e64 v0, v133, v0
	v_fma_f16 v5, v133, v9, -v5
	s_delay_alu instid0(VALU_DEP_2)
	v_fmac_f16_e32 v0, v2, v9
	v_lshrrev_b32_e32 v2, 16, v8
	ds_load_2addr_b32 v[132:133], v128 offset1:144
	v_pack_b32_f16 v0, v5, v0
	v_mul_f16_e32 v7, v6, v2
	v_mul_f16_e64 v2, v253, v2
	v_add_nc_u32_e32 v5, 0x2a00, v117
	s_delay_alu instid0(VALU_DEP_3) | instskip(NEXT) | instid1(VALU_DEP_3)
	v_fma_f16 v7, v253, v8, -v7
	v_fmac_f16_e32 v2, v6, v8
	s_delay_alu instid0(VALU_DEP_1)
	v_pack_b32_f16 v2, v7, v2
	ds_store_2addr_b32 v5, v2, v0 offset0:48 offset1:192
	global_load_b32 v0, v117, s[2:3] offset:4608
	s_wait_dscnt 0x1
	v_lshrrev_b32_e32 v5, 16, v132
	v_lshrrev_b32_e32 v7, 16, v133
	s_wait_loadcnt 0x0
	v_lshrrev_b32_e32 v2, 16, v0
	s_delay_alu instid0(VALU_DEP_1) | instskip(SKIP_1) | instid1(VALU_DEP_2)
	v_mul_f16_e64 v6, v132, v2
	v_mul_f16_e32 v2, v5, v2
	v_fmac_f16_e32 v6, v5, v0
	s_delay_alu instid0(VALU_DEP_2) | instskip(SKIP_4) | instid1(VALU_DEP_1)
	v_fma_f16 v0, v132, v0, -v2
	global_load_b32 v2, v117, s[2:3] offset:5184
	v_pack_b32_f16 v0, v0, v6
	s_wait_loadcnt 0x0
	v_lshrrev_b32_e32 v5, 16, v2
	v_mul_f16_e32 v8, v7, v5
	v_mul_f16_e64 v5, v133, v5
	s_delay_alu instid0(VALU_DEP_2) | instskip(NEXT) | instid1(VALU_DEP_2)
	v_fma_f16 v8, v133, v2, -v8
	v_fmac_f16_e32 v5, v7, v2
	v_lshrrev_b32_e32 v2, 16, v4
	v_lshrrev_b32_e32 v7, 16, v134
	s_delay_alu instid0(VALU_DEP_1) | instskip(SKIP_1) | instid1(VALU_DEP_2)
	v_mul_f16_e32 v9, v7, v2
	v_mul_f16_e64 v2, v134, v2
	v_fma_f16 v9, v134, v4, -v9
	s_delay_alu instid0(VALU_DEP_2) | instskip(SKIP_2) | instid1(VALU_DEP_3)
	v_fmac_f16_e32 v2, v7, v4
	v_lshrrev_b32_e32 v4, 16, v3
	v_lshrrev_b32_e32 v7, 16, v249
	v_pack_b32_f16 v2, v9, v2
	s_delay_alu instid0(VALU_DEP_2) | instskip(SKIP_1) | instid1(VALU_DEP_2)
	v_mul_f16_e32 v10, v7, v4
	v_mul_f16_e64 v4, v249, v4
	v_fma_f16 v10, v249, v3, -v10
	s_delay_alu instid0(VALU_DEP_2) | instskip(SKIP_2) | instid1(VALU_DEP_1)
	v_fmac_f16_e32 v4, v7, v3
	v_lshrrev_b32_e32 v3, 16, v1
	v_lshrrev_b32_e32 v7, 16, v255
	v_mul_f16_e32 v11, v7, v3
	v_mul_f16_e64 v3, v255, v3
	s_delay_alu instid0(VALU_DEP_2) | instskip(NEXT) | instid1(VALU_DEP_2)
	v_fma_f16 v11, v255, v1, -v11
	v_fmac_f16_e32 v3, v7, v1
	v_pack_b32_f16 v1, v8, v5
	ds_store_2addr_b32 v131, v1, v2 offset0:16 offset1:160
	v_pack_b32_f16 v1, v10, v4
	ds_store_2addr_b32 v189, v1, v0 offset0:48 offset1:192
	v_pack_b32_f16 v0, v11, v3
	ds_store_b32 v117, v0 offset:13248
	global_wb scope:SCOPE_SE
	s_wait_dscnt 0x0
	s_barrier_signal -1
	s_barrier_wait -1
	global_inv scope:SCOPE_SE
	ds_load_2addr_b32 v[132:133], v127 offset0:64 offset1:208
	ds_load_2addr_b32 v[134:135], v123 offset0:64 offset1:208
	;; [unrolled: 1-line block ×3, first 2 shown]
	ds_load_2addr_b32 v[246:247], v128 offset1:144
	ds_load_2addr_b32 v[248:249], v126 offset1:144
	;; [unrolled: 1-line block ×3, first 2 shown]
	s_wait_dscnt 0x4
	v_pk_add_f16 v0, v132, v134
	v_pk_add_f16 v1, v132, v134 neg_lo:[0,1] neg_hi:[0,1]
	s_wait_dscnt 0x1
	v_pk_add_f16 v3, v246, v248 neg_lo:[0,1] neg_hi:[0,1]
	s_delay_alu instid0(VALU_DEP_3) | instskip(NEXT) | instid1(VALU_DEP_1)
	v_pk_fma_f16 v0, v0, 0.5, v244 op_sel_hi:[1,0,1] neg_lo:[1,0,0] neg_hi:[1,0,0]
	v_pk_fma_f16 v2, 0x3aee, v1, v0 op_sel:[0,0,1] op_sel_hi:[0,1,0]
	v_pk_fma_f16 v0, 0x3aee, v1, v0 op_sel:[0,0,1] op_sel_hi:[0,1,0] neg_lo:[0,1,0] neg_hi:[0,1,0]
	v_pk_add_f16 v1, v246, v248
	s_delay_alu instid0(VALU_DEP_3) | instskip(SKIP_1) | instid1(VALU_DEP_2)
	v_mul_f16_e32 v5, 0xbaee, v2
	s_wait_dscnt 0x0
	v_pk_fma_f16 v1, v1, 0.5, v250 op_sel_hi:[1,0,1] neg_lo:[1,0,0] neg_hi:[1,0,0]
	s_delay_alu instid0(VALU_DEP_1) | instskip(SKIP_2) | instid1(VALU_DEP_1)
	v_pk_fma_f16 v4, 0x3aee, v3, v1 op_sel:[0,0,1] op_sel_hi:[0,1,0] neg_lo:[0,1,0] neg_hi:[0,1,0]
	v_pk_fma_f16 v1, 0x3aee, v3, v1 op_sel:[0,0,1] op_sel_hi:[0,1,0]
	v_lshrrev_b32_e32 v3, 16, v0
	v_fmac_f16_e32 v5, 0.5, v3
	v_pk_mul_f16 v3, 0x3aee, v0 op_sel_hi:[0,1]
	v_mul_f16_e32 v0, -0.5, v0
	s_delay_alu instid0(VALU_DEP_2) | instskip(SKIP_2) | instid1(VALU_DEP_3)
	v_pk_fma_f16 v6, 0xb8003800, v2, v3 op_sel:[0,0,1] op_sel_hi:[1,1,0]
	v_pk_fma_f16 v3, 0xb8003800, v2, v3 op_sel:[0,0,1] op_sel_hi:[1,1,0] neg_lo:[0,0,1] neg_hi:[0,0,1]
	v_lshrrev_b32_e32 v2, 16, v2
	v_pack_b32_f16 v7, v5, v6
	s_delay_alu instid0(VALU_DEP_2) | instskip(SKIP_1) | instid1(VALU_DEP_1)
	v_fmac_f16_e32 v0, 0x3aee, v2
	v_alignbit_b32 v2, v1, v4, 16
	v_pk_add_f16 v252, v2, v7 neg_lo:[0,1] neg_hi:[0,1]
	v_alignbit_b32 v2, v4, v1, 16
	s_delay_alu instid0(VALU_DEP_4) | instskip(SKIP_1) | instid1(VALU_DEP_2)
	v_alignbit_b32 v7, v0, v3, 16
	v_add_f16_e32 v0, v4, v0
	v_pk_add_f16 v253, v2, v7 neg_lo:[0,1] neg_hi:[0,1]
	v_bfi_b32 v2, 0xffff, v6, v3
	v_lshrrev_b32_e32 v3, 16, v4
	v_pk_add_f16 v4, v244, v132
	v_pk_add_f16 v132, v247, v249 neg_lo:[0,1] neg_hi:[0,1]
	s_delay_alu instid0(VALU_DEP_4) | instskip(SKIP_3) | instid1(VALU_DEP_4)
	v_pk_add_f16 v1, v1, v2
	v_pk_add_f16 v2, v250, v246
	v_add_f16_e32 v3, v3, v5
	v_pk_add_f16 v4, v4, v134
	v_alignbit_b32 v254, v0, v1, 16
	s_delay_alu instid0(VALU_DEP_4) | instskip(NEXT) | instid1(VALU_DEP_4)
	v_pk_add_f16 v2, v2, v248
	v_pack_b32_f16 v1, v3, v1
	s_delay_alu instid0(VALU_DEP_2)
	v_pk_add_f16 v255, v2, v4 neg_lo:[0,1] neg_hi:[0,1]
	v_pk_add_f16 v0, v2, v4
	ds_load_2addr_b32 v[10:11], v96 offset0:32 offset1:176
	ds_load_2addr_b32 v[12:13], v98 offset0:96 offset1:240
	;; [unrolled: 1-line block ×6, first 2 shown]
	global_wb scope:SCOPE_SE
	s_wait_dscnt 0x0
	s_barrier_signal -1
	s_barrier_wait -1
	global_inv scope:SCOPE_SE
	ds_store_2addr_b64 v136, v[0:1], v[254:255] offset1:1
	ds_store_b64 v136, v[252:253] offset:16
	v_pk_add_f16 v0, v251, v247
	v_pk_add_f16 v1, v247, v249
	;; [unrolled: 1-line block ×3, first 2 shown]
	s_delay_alu instid0(VALU_DEP_3) | instskip(NEXT) | instid1(VALU_DEP_3)
	v_pk_add_f16 v134, v0, v249
	v_pk_fma_f16 v0, v1, 0.5, v251 op_sel_hi:[1,0,1] neg_lo:[1,0,0] neg_hi:[1,0,0]
	v_pk_add_f16 v1, v133, v135
	v_pk_add_f16 v133, v133, v135 neg_lo:[0,1] neg_hi:[0,1]
	v_pk_add_f16 v135, v136, v135
	s_delay_alu instid0(VALU_DEP_4) | instskip(NEXT) | instid1(VALU_DEP_4)
	v_pk_fma_f16 v244, 0x3aee, v132, v0 op_sel:[0,0,1] op_sel_hi:[0,1,0] neg_lo:[0,1,0] neg_hi:[0,1,0]
	v_pk_fma_f16 v1, v1, 0.5, v245 op_sel_hi:[1,0,1] neg_lo:[1,0,0] neg_hi:[1,0,0]
	v_pk_fma_f16 v245, 0x3aee, v132, v0 op_sel:[0,0,1] op_sel_hi:[0,1,0]
	s_delay_alu instid0(VALU_DEP_4) | instskip(NEXT) | instid1(VALU_DEP_3)
	v_pk_add_f16 v132, v134, v135
	v_pk_fma_f16 v136, 0x3aee, v133, v1 op_sel:[0,0,1] op_sel_hi:[0,1,0] neg_lo:[0,1,0] neg_hi:[0,1,0]
	v_pk_fma_f16 v1, 0x3aee, v133, v1 op_sel:[0,0,1] op_sel_hi:[0,1,0]
	s_delay_alu instid0(VALU_DEP_2) | instskip(NEXT) | instid1(VALU_DEP_2)
	v_lshrrev_b32_e32 v0, 16, v136
	v_mul_f16_e64 v246, 0xbaee, v1
	s_delay_alu instid0(VALU_DEP_1) | instskip(SKIP_2) | instid1(VALU_DEP_2)
	v_fmac_f16_e64 v246, 0.5, v0
	v_pk_mul_f16 v0, 0x3aee, v136 op_sel_hi:[0,1]
	v_mul_f16_e64 v136, -0.5, v136
	v_pk_fma_f16 v247, 0xb8003800, v1, v0 op_sel:[0,0,1] op_sel_hi:[1,1,0]
	v_pk_fma_f16 v248, 0xb8003800, v1, v0 op_sel:[0,0,1] op_sel_hi:[1,1,0] neg_lo:[0,0,1] neg_hi:[0,0,1]
	v_lshrrev_b32_e32 v0, 16, v1
	v_pk_add_f16 v1, v134, v135 neg_lo:[0,1] neg_hi:[0,1]
	v_alignbit_b32 v134, v245, v244, 16
	v_alignbit_b32 v135, v244, v245, 16
	s_delay_alu instid0(VALU_DEP_4) | instskip(SKIP_1) | instid1(VALU_DEP_1)
	v_fmac_f16_e64 v136, 0x3aee, v0
	v_lshrrev_b32_e32 v0, 16, v244
	v_add_f16_e64 v133, v0, v246
	v_bfi_b32 v0, 0xffff, v247, v248
	s_delay_alu instid0(VALU_DEP_1) | instskip(SKIP_3) | instid1(VALU_DEP_4)
	v_pk_add_f16 v249, v245, v0
	v_add_f16_e64 v0, v244, v136
	v_pack_b32_f16 v244, v246, v247
	v_alignbit_b32 v136, v136, v248, 16
	v_pack_b32_f16 v133, v133, v249
	s_delay_alu instid0(VALU_DEP_4) | instskip(NEXT) | instid1(VALU_DEP_4)
	v_alignbit_b32 v0, v0, v249, 16
	v_pk_add_f16 v134, v134, v244 neg_lo:[0,1] neg_hi:[0,1]
	s_delay_alu instid0(VALU_DEP_4)
	v_pk_add_f16 v135, v135, v136 neg_lo:[0,1] neg_hi:[0,1]
	ds_store_2addr_b64 v137, v[132:133], v[0:1] offset1:1
	ds_store_b64 v137, v[134:135] offset:16
	v_pk_add_f16 v0, v8, v6
	v_pk_add_f16 v1, v8, v6 neg_lo:[0,1] neg_hi:[0,1]
	v_pk_add_f16 v133, v4, v2 neg_lo:[0,1] neg_hi:[0,1]
	s_delay_alu instid0(VALU_DEP_3) | instskip(NEXT) | instid1(VALU_DEP_1)
	v_pk_fma_f16 v0, v0, 0.5, v12 op_sel_hi:[1,0,1] neg_lo:[1,0,0] neg_hi:[1,0,0]
	v_pk_fma_f16 v132, 0x3aee, v1, v0 op_sel:[0,0,1] op_sel_hi:[0,1,0]
	v_pk_fma_f16 v0, 0x3aee, v1, v0 op_sel:[0,0,1] op_sel_hi:[0,1,0] neg_lo:[0,1,0] neg_hi:[0,1,0]
	v_pk_add_f16 v1, v4, v2
	s_delay_alu instid0(VALU_DEP_3) | instskip(NEXT) | instid1(VALU_DEP_3)
	v_mul_f16_e64 v136, 0xbaee, v132
	v_mul_f16_e64 v245, -0.5, v0
	s_delay_alu instid0(VALU_DEP_3) | instskip(NEXT) | instid1(VALU_DEP_1)
	v_pk_fma_f16 v1, v1, 0.5, v10 op_sel_hi:[1,0,1] neg_lo:[1,0,0] neg_hi:[1,0,0]
	v_pk_fma_f16 v134, 0x3aee, v133, v1 op_sel:[0,0,1] op_sel_hi:[0,1,0] neg_lo:[0,1,0] neg_hi:[0,1,0]
	v_pk_fma_f16 v135, 0x3aee, v133, v1 op_sel:[0,0,1] op_sel_hi:[0,1,0]
	v_lshrrev_b32_e32 v1, 16, v0
	s_delay_alu instid0(VALU_DEP_1) | instskip(SKIP_2) | instid1(VALU_DEP_2)
	v_fmac_f16_e64 v136, 0.5, v1
	v_pk_mul_f16 v1, 0x3aee, v0 op_sel_hi:[0,1]
	v_pk_add_f16 v0, v10, v4
	v_pk_fma_f16 v137, 0xb8003800, v132, v1 op_sel:[0,0,1] op_sel_hi:[1,1,0]
	s_delay_alu instid0(VALU_DEP_2) | instskip(SKIP_3) | instid1(VALU_DEP_3)
	v_pk_add_f16 v2, v0, v2
	v_pk_add_f16 v0, v12, v8
	v_pk_fma_f16 v244, 0xb8003800, v132, v1 op_sel:[0,0,1] op_sel_hi:[1,1,0] neg_lo:[0,0,1] neg_hi:[0,0,1]
	v_lshrrev_b32_e32 v1, 16, v132
	v_pk_add_f16 v4, v0, v6
	v_lshrrev_b32_e32 v0, 16, v134
	s_delay_alu instid0(VALU_DEP_3) | instskip(NEXT) | instid1(VALU_DEP_3)
	v_fmac_f16_e64 v245, 0x3aee, v1
	v_pk_add_f16 v1, v2, v4 neg_lo:[0,1] neg_hi:[0,1]
	s_delay_alu instid0(VALU_DEP_3) | instskip(SKIP_4) | instid1(VALU_DEP_4)
	v_add_f16_e64 v6, v0, v136
	v_bfi_b32 v0, 0xffff, v137, v244
	v_pk_add_f16 v132, v2, v4
	v_alignbit_b32 v2, v135, v134, 16
	v_alignbit_b32 v4, v134, v135, 16
	v_pk_add_f16 v8, v135, v0
	v_add_f16_e64 v0, v134, v245
	s_delay_alu instid0(VALU_DEP_2) | instskip(NEXT) | instid1(VALU_DEP_2)
	v_pack_b32_f16 v133, v6, v8
	v_alignbit_b32 v0, v0, v8, 16
	v_pack_b32_f16 v6, v136, v137
	v_alignbit_b32 v8, v245, v244, 16
	s_delay_alu instid0(VALU_DEP_2) | instskip(NEXT) | instid1(VALU_DEP_2)
	v_pk_add_f16 v134, v2, v6 neg_lo:[0,1] neg_hi:[0,1]
	v_pk_add_f16 v135, v4, v8 neg_lo:[0,1] neg_hi:[0,1]
	ds_store_2addr_b64 v142, v[132:133], v[0:1] offset1:1
	ds_store_b64 v142, v[134:135] offset:16
	v_pk_add_f16 v0, v11, v5
	v_pk_add_f16 v1, v5, v3
	v_pk_add_f16 v2, v5, v3 neg_lo:[0,1] neg_hi:[0,1]
	v_pk_add_f16 v5, v9, v7 neg_lo:[0,1] neg_hi:[0,1]
	v_pk_add_f16 v4, v13, v9
	v_pk_add_f16 v3, v0, v3
	v_pk_fma_f16 v0, v1, 0.5, v11 op_sel_hi:[1,0,1] neg_lo:[1,0,0] neg_hi:[1,0,0]
	v_pk_add_f16 v1, v9, v7
	s_delay_alu instid0(VALU_DEP_4) | instskip(NEXT) | instid1(VALU_DEP_3)
	v_pk_add_f16 v4, v4, v7
	v_pk_fma_f16 v7, 0x3aee, v2, v0 op_sel:[0,0,1] op_sel_hi:[0,1,0]
	s_delay_alu instid0(VALU_DEP_3) | instskip(NEXT) | instid1(VALU_DEP_1)
	v_pk_fma_f16 v1, v1, 0.5, v13 op_sel_hi:[1,0,1] neg_lo:[1,0,0] neg_hi:[1,0,0]
	v_pk_fma_f16 v6, 0x3aee, v5, v1 op_sel:[0,0,1] op_sel_hi:[0,1,0] neg_lo:[0,1,0] neg_hi:[0,1,0]
	v_pk_fma_f16 v1, 0x3aee, v5, v1 op_sel:[0,0,1] op_sel_hi:[0,1,0]
	v_pk_fma_f16 v5, 0x3aee, v2, v0 op_sel:[0,0,1] op_sel_hi:[0,1,0] neg_lo:[0,1,0] neg_hi:[0,1,0]
	v_pk_add_f16 v2, v3, v4
	s_delay_alu instid0(VALU_DEP_4) | instskip(NEXT) | instid1(VALU_DEP_4)
	v_lshrrev_b32_e32 v0, 16, v6
	v_mul_f16_e32 v8, 0xbaee, v1
	s_delay_alu instid0(VALU_DEP_1) | instskip(SKIP_2) | instid1(VALU_DEP_2)
	v_fmac_f16_e32 v8, 0.5, v0
	v_pk_mul_f16 v0, 0x3aee, v6 op_sel_hi:[0,1]
	v_mul_f16_e32 v6, -0.5, v6
	v_pk_fma_f16 v9, 0xb8003800, v1, v0 op_sel:[0,0,1] op_sel_hi:[1,1,0]
	v_pk_fma_f16 v10, 0xb8003800, v1, v0 op_sel:[0,0,1] op_sel_hi:[1,1,0] neg_lo:[0,0,1] neg_hi:[0,0,1]
	v_lshrrev_b32_e32 v0, 16, v1
	v_pk_add_f16 v1, v3, v4 neg_lo:[0,1] neg_hi:[0,1]
	s_delay_alu instid0(VALU_DEP_4) | instskip(NEXT) | instid1(VALU_DEP_3)
	v_pack_b32_f16 v4, v8, v9
	v_fmac_f16_e32 v6, 0x3aee, v0
	v_lshrrev_b32_e32 v0, 16, v5
	s_delay_alu instid0(VALU_DEP_1) | instskip(SKIP_2) | instid1(VALU_DEP_2)
	v_add_f16_e32 v11, v0, v8
	v_bfi_b32 v0, 0xffff, v9, v10
	v_alignbit_b32 v8, v7, v5, 16
	v_pk_add_f16 v12, v7, v0
	v_add_f16_e32 v0, v5, v6
	v_alignbit_b32 v5, v5, v7, 16
	v_alignbit_b32 v6, v6, v10, 16
	v_pk_add_f16 v4, v8, v4 neg_lo:[0,1] neg_hi:[0,1]
	v_pack_b32_f16 v3, v11, v12
	v_alignbit_b32 v0, v0, v12, 16
	s_delay_alu instid0(VALU_DEP_4)
	v_pk_add_f16 v5, v5, v6 neg_lo:[0,1] neg_hi:[0,1]
	ds_store_2addr_b64 v143, v[2:3], v[0:1] offset1:1
	ds_store_b64 v143, v[4:5] offset:16
	global_wb scope:SCOPE_SE
	s_wait_dscnt 0x0
	s_barrier_signal -1
	s_barrier_wait -1
	global_inv scope:SCOPE_SE
	ds_load_2addr_b32 v[0:1], v130 offset0:64 offset1:208
	s_wait_dscnt 0x0
	v_lshrrev_b32_e32 v2, 16, v0
	v_mul_f16_e32 v3, v14, v0
	s_delay_alu instid0(VALU_DEP_2) | instskip(NEXT) | instid1(VALU_DEP_2)
	v_mul_f16_e32 v8, v14, v2
	v_fma_f16 v9, v69, v2, -v3
	ds_load_2addr_b32 v[2:3], v128 offset1:144
	v_fmac_f16_e32 v8, v69, v0
	v_lshrrev_b32_e32 v0, 16, v1
	s_wait_dscnt 0x0
	v_lshrrev_b32_e32 v4, 16, v2
	v_mul_f16_e32 v5, v15, v2
	s_delay_alu instid0(VALU_DEP_2) | instskip(NEXT) | instid1(VALU_DEP_2)
	v_mul_f16_e32 v10, v15, v4
	v_fma_f16 v11, v70, v4, -v5
	ds_load_2addr_b32 v[4:5], v127 offset0:64 offset1:208
	v_fmac_f16_e32 v10, v70, v2
	v_lshrrev_b32_e32 v2, 16, v3
	s_delay_alu instid0(VALU_DEP_1) | instskip(NEXT) | instid1(VALU_DEP_1)
	v_mul_f16_e64 v69, v162, v2
	v_fmac_f16_e64 v69, v167, v3
	v_mul_f16_e64 v3, v162, v3
	s_wait_dscnt 0x0
	v_lshrrev_b32_e32 v6, 16, v4
	v_mul_f16_e32 v7, v79, v4
	s_delay_alu instid0(VALU_DEP_3) | instskip(NEXT) | instid1(VALU_DEP_3)
	v_fma_f16 v132, v167, v2, -v3
	v_mul_f16_e32 v12, v79, v6
	s_delay_alu instid0(VALU_DEP_3) | instskip(SKIP_3) | instid1(VALU_DEP_1)
	v_fma_f16 v13, v71, v6, -v7
	ds_load_2addr_b32 v[6:7], v126 offset1:144
	v_fmac_f16_e32 v12, v71, v4
	v_lshrrev_b32_e32 v4, 16, v5
	v_mul_f16_e64 v70, v163, v4
	s_delay_alu instid0(VALU_DEP_1) | instskip(SKIP_4) | instid1(VALU_DEP_3)
	v_fmac_f16_e64 v70, v168, v5
	v_mul_f16_e64 v5, v163, v5
	s_wait_dscnt 0x0
	v_lshrrev_b32_e32 v14, 16, v6
	v_mul_f16_e32 v15, v80, v6
	v_fma_f16 v133, v168, v4, -v5
	s_delay_alu instid0(VALU_DEP_3) | instskip(NEXT) | instid1(VALU_DEP_3)
	v_mul_f16_e32 v79, v80, v14
	v_fma_f16 v14, v72, v14, -v15
	v_mul_f16_e64 v15, v159, v0
	s_delay_alu instid0(VALU_DEP_3) | instskip(SKIP_1) | instid1(VALU_DEP_3)
	v_fmac_f16_e32 v79, v72, v6
	v_lshrrev_b32_e32 v6, 16, v7
	v_fmac_f16_e64 v15, v166, v1
	v_mul_f16_e64 v1, v159, v1
	v_mul_f16_e64 v72, v164, v7
	s_delay_alu instid0(VALU_DEP_4) | instskip(NEXT) | instid1(VALU_DEP_3)
	v_mul_f16_e64 v71, v164, v6
	v_fma_f16 v80, v166, v0, -v1
	ds_load_2addr_b32 v[0:1], v98 offset0:96 offset1:240
	v_fma_f16 v72, v169, v6, -v72
	v_fmac_f16_e64 v71, v169, v7
	s_wait_dscnt 0x0
	v_lshrrev_b32_e32 v2, 16, v0
	v_mul_f16_e64 v3, v178, v0
	s_delay_alu instid0(VALU_DEP_2) | instskip(NEXT) | instid1(VALU_DEP_2)
	v_mul_f16_e64 v134, v178, v2
	v_fma_f16 v135, v75, v2, -v3
	ds_load_2addr_b32 v[2:3], v97 offset0:32 offset1:176
	v_fmac_f16_e64 v134, v75, v0
	v_lshrrev_b32_e32 v0, 16, v1
	s_delay_alu instid0(VALU_DEP_1) | instskip(NEXT) | instid1(VALU_DEP_1)
	v_mul_f16_e32 v75, v74, v0
	v_fmac_f16_e64 v75, v171, v1
	v_mul_f16_e32 v1, v74, v1
	s_wait_dscnt 0x0
	v_lshrrev_b32_e32 v4, 16, v2
	v_mul_f16_e64 v5, v179, v2
	s_delay_alu instid0(VALU_DEP_2) | instskip(NEXT) | instid1(VALU_DEP_2)
	v_mul_f16_e64 v136, v179, v4
	v_fma_f16 v137, v76, v4, -v5
	ds_load_2addr_b32 v[4:5], v95 offset0:96 offset1:240
	v_fmac_f16_e64 v136, v76, v2
	v_lshrrev_b32_e32 v2, 16, v3
	s_delay_alu instid0(VALU_DEP_1) | instskip(NEXT) | instid1(VALU_DEP_1)
	v_mul_f16_e32 v74, v68, v2
	v_fmac_f16_e64 v74, v172, v3
	v_mul_f16_e32 v3, v68, v3
	s_wait_dscnt 0x0
	v_lshrrev_b32_e32 v6, 16, v4
	v_mul_f16_e64 v7, v180, v4
	s_delay_alu instid0(VALU_DEP_2) | instskip(NEXT) | instid1(VALU_DEP_2)
	v_mul_f16_e64 v142, v180, v6
	v_fma_f16 v143, v77, v6, -v7
	ds_load_2addr_b32 v[6:7], v94 offset0:32 offset1:176
	v_fmac_f16_e64 v142, v77, v4
	v_lshrrev_b32_e32 v4, 16, v5
	s_delay_alu instid0(VALU_DEP_1) | instskip(NEXT) | instid1(VALU_DEP_1)
	v_mul_f16_e64 v68, v175, v4
	v_fmac_f16_e64 v68, v173, v5
	v_mul_f16_e64 v5, v175, v5
	s_wait_dscnt 0x0
	v_lshrrev_b32_e32 v159, 16, v6
	v_mul_f16_e64 v162, v181, v6
	s_delay_alu instid0(VALU_DEP_3) | instskip(SKIP_1) | instid1(VALU_DEP_4)
	v_fma_f16 v164, v173, v4, -v5
	v_mul_f16_e64 v77, v176, v7
	v_mul_f16_e64 v163, v181, v159
	s_delay_alu instid0(VALU_DEP_4) | instskip(SKIP_1) | instid1(VALU_DEP_3)
	v_fma_f16 v159, v78, v159, -v162
	v_fma_f16 v162, v172, v2, -v3
	v_fmac_f16_e64 v163, v78, v6
	v_fma_f16 v78, v171, v0, -v1
	ds_load_2addr_b32 v[0:1], v123 offset0:64 offset1:208
	v_lshrrev_b32_e32 v6, 16, v7
	s_delay_alu instid0(VALU_DEP_1) | instskip(SKIP_1) | instid1(VALU_DEP_2)
	v_mul_f16_e64 v76, v176, v6
	v_fma_f16 v77, v174, v6, -v77
	v_fmac_f16_e64 v76, v174, v7
	v_add_f16_e32 v7, v11, v14
	s_wait_dscnt 0x0
	v_lshrrev_b32_e32 v2, 16, v0
	v_mul_f16_e64 v3, v156, v0
	s_delay_alu instid0(VALU_DEP_2) | instskip(NEXT) | instid1(VALU_DEP_2)
	v_mul_f16_e64 v4, v156, v2
	v_fma_f16 v5, v154, v2, -v3
	ds_load_2addr_b32 v[2:3], v117 offset1:144
	v_fmac_f16_e64 v4, v154, v0
	s_delay_alu instid0(VALU_DEP_1) | instskip(SKIP_2) | instid1(VALU_DEP_1)
	v_add_f16_e64 v156, v12, v4
	s_wait_dscnt 0x0
	v_lshrrev_b32_e32 v0, 16, v2
	v_add_f16_e32 v6, v0, v11
	v_sub_f16_e32 v11, v11, v14
	v_fmac_f16_e32 v0, -0.5, v7
	v_add_f16_e32 v7, v13, v5
	s_delay_alu instid0(VALU_DEP_4) | instskip(SKIP_1) | instid1(VALU_DEP_1)
	v_add_f16_e32 v14, v6, v14
	v_add_f16_e32 v6, v2, v10
	v_add_f16_e64 v154, v6, v79
	v_add_f16_e32 v6, v10, v79
	v_sub_f16_e32 v10, v10, v79
	v_add_f16_e32 v79, v9, v13
	v_fmac_f16_e32 v9, -0.5, v7
	v_add_f16_e32 v7, v8, v12
	v_sub_f16_e32 v12, v12, v4
	v_fmac_f16_e64 v8, -0.5, v156
	v_sub_f16_e32 v13, v13, v5
	v_fma_f16 v2, -0.5, v6, v2
	v_add_f16_e64 v166, v7, v4
	v_fmamk_f16 v4, v12, 0x3aee, v9
	v_fmac_f16_e32 v9, 0xbaee, v12
	v_fma_f16 v171, 0x3aee, v10, v0
	v_fmac_f16_e32 v0, 0xbaee, v10
	v_add_f16_e32 v79, v79, v5
	v_mul_f16_e64 v156, 0xbaee, v4
	v_mul_f16_e64 v167, 0.5, v4
	v_fmamk_f16 v4, v13, 0xbaee, v8
	v_fmac_f16_e32 v8, 0x3aee, v13
	v_mul_f16_e32 v10, 0xbaee, v9
	v_mul_f16_e32 v9, -0.5, v9
	v_fma_f16 v169, 0xbaee, v11, v2
	v_fmac_f16_e32 v2, 0x3aee, v11
	v_fmac_f16_e64 v156, 0.5, v4
	v_fmac_f16_e32 v10, -0.5, v8
	v_fmac_f16_e32 v9, 0x3aee, v8
	v_fmac_f16_e64 v167, 0x3aee, v4
	v_add_f16_e64 v4, v154, v166
	v_add_f16_e32 v5, v14, v79
	v_sub_f16_e64 v8, v154, v166
	v_sub_f16_e32 v11, v14, v79
	v_add_f16_e32 v12, v2, v10
	v_add_f16_e32 v13, v0, v9
	v_pack_b32_f16 v168, v4, v5
	v_add_f16_e64 v4, v169, v156
	v_add_f16_e64 v5, v171, v167
	v_pack_b32_f16 v8, v8, v11
	v_pack_b32_f16 v12, v12, v13
	v_sub_f16_e32 v2, v2, v10
	v_sub_f16_e64 v10, v171, v167
	v_pack_b32_f16 v172, v4, v5
	ds_load_2addr_b32 v[4:5], v96 offset0:32 offset1:176
	ds_load_2addr_b32 v[6:7], v91 offset0:96 offset1:240
	global_wb scope:SCOPE_SE
	s_wait_dscnt 0x0
	s_barrier_signal -1
	s_barrier_wait -1
	global_inv scope:SCOPE_SE
	ds_store_2addr_b32 v138, v12, v8 offset0:12 offset1:18
	v_sub_f16_e64 v8, v169, v156
	v_sub_f16_e32 v0, v0, v9
	v_add_f16_e32 v9, v3, v69
	v_add_f16_e32 v11, v15, v70
	v_add_f16_e64 v12, v80, v133
	v_pack_b32_f16 v8, v8, v10
	v_pack_b32_f16 v0, v2, v0
	v_add_f16_e64 v79, v132, v72
	v_add_f16_e32 v9, v9, v71
	ds_store_2addr_b32 v138, v168, v172 offset1:6
	ds_store_2addr_b32 v138, v8, v0 offset0:24 offset1:30
	v_lshrrev_b32_e32 v0, 16, v1
	v_mul_f16_e64 v8, v141, v1
	s_delay_alu instid0(VALU_DEP_2) | instskip(NEXT) | instid1(VALU_DEP_2)
	v_mul_f16_e64 v2, v141, v0
	v_fma_f16 v0, v139, v0, -v8
	v_lshrrev_b32_e32 v8, 16, v3
	s_delay_alu instid0(VALU_DEP_3) | instskip(SKIP_2) | instid1(VALU_DEP_2)
	v_fmac_f16_e64 v2, v139, v1
	v_add_f16_e32 v1, v69, v71
	v_sub_f16_e32 v69, v69, v71
	v_fmac_f16_e32 v3, -0.5, v1
	v_sub_f16_e64 v1, v132, v72
	s_delay_alu instid0(VALU_DEP_1) | instskip(SKIP_2) | instid1(VALU_DEP_1)
	v_fmamk_f16 v10, v1, 0xbaee, v3
	v_fmac_f16_e32 v3, 0x3aee, v1
	v_add_f16_e32 v1, v70, v2
	v_fmac_f16_e32 v15, -0.5, v1
	v_add_f16_e64 v1, v133, v0
	s_delay_alu instid0(VALU_DEP_1) | instskip(SKIP_2) | instid1(VALU_DEP_2)
	v_fmac_f16_e32 v80, -0.5, v1
	v_sub_f16_e32 v1, v70, v2
	v_add_f16_e32 v2, v11, v2
	v_fmamk_f16 v13, v1, 0x3aee, v80
	v_fmac_f16_e32 v80, 0xbaee, v1
	v_sub_f16_e64 v1, v133, v0
	v_add_f16_e32 v0, v12, v0
	s_delay_alu instid0(VALU_DEP_4) | instskip(SKIP_1) | instid1(VALU_DEP_4)
	v_mul_f16_e32 v11, 0xbaee, v13
	v_mul_f16_e32 v12, 0.5, v13
	v_fmamk_f16 v14, v1, 0xbaee, v15
	v_fmac_f16_e32 v15, 0x3aee, v1
	v_mul_f16_e32 v1, 0xbaee, v80
	v_add_f16_e32 v13, v9, v2
	v_sub_f16_e32 v2, v9, v2
	v_fmac_f16_e32 v11, 0.5, v14
	v_fmac_f16_e32 v12, 0x3aee, v14
	v_fmac_f16_e32 v1, -0.5, v15
	v_add_f16_e64 v9, v136, v163
	s_delay_alu instid0(VALU_DEP_4) | instskip(NEXT) | instid1(VALU_DEP_3)
	v_add_f16_e32 v71, v10, v11
	v_add_f16_e32 v70, v3, v1
	v_sub_f16_e32 v1, v3, v1
	v_add_f16_e64 v3, v8, v132
	v_fmac_f16_e32 v8, -0.5, v79
	s_delay_alu instid0(VALU_DEP_2) | instskip(NEXT) | instid1(VALU_DEP_1)
	v_add_f16_e32 v3, v3, v72
	v_add_f16_e32 v14, v3, v0
	v_sub_f16_e32 v0, v3, v0
	s_delay_alu instid0(VALU_DEP_2) | instskip(SKIP_2) | instid1(VALU_DEP_4)
	v_pack_b32_f16 v13, v13, v14
	v_fmamk_f16 v14, v69, 0x3aee, v8
	v_fmac_f16_e32 v8, 0xbaee, v69
	v_pack_b32_f16 v0, v2, v0
	s_delay_alu instid0(VALU_DEP_3) | instskip(SKIP_2) | instid1(VALU_DEP_3)
	v_add_f16_e32 v72, v14, v12
	v_sub_f16_e32 v2, v14, v12
	v_add_f16_e64 v12, v135, v143
	v_pack_b32_f16 v71, v71, v72
	ds_store_2addr_b32 v146, v13, v71 offset1:6
	v_mul_f16_e32 v13, -0.5, v80
	s_delay_alu instid0(VALU_DEP_1) | instskip(NEXT) | instid1(VALU_DEP_1)
	v_fmac_f16_e32 v13, 0x3aee, v15
	v_add_f16_e32 v3, v8, v13
	s_delay_alu instid0(VALU_DEP_1)
	v_pack_b32_f16 v3, v70, v3
	ds_store_2addr_b32 v146, v3, v0 offset0:12 offset1:18
	v_sub_f16_e32 v0, v10, v11
	v_sub_f16_e32 v3, v8, v13
	v_sub_f16_e64 v8, v137, v159
	v_sub_f16_e64 v10, v136, v163
	s_delay_alu instid0(VALU_DEP_4) | instskip(NEXT) | instid1(VALU_DEP_4)
	v_pack_b32_f16 v0, v0, v2
	v_pack_b32_f16 v1, v1, v3
	ds_store_2addr_b32 v146, v0, v1 offset0:24 offset1:30
	v_lshrrev_b32_e32 v0, 16, v6
	v_mul_f16_e64 v1, v148, v6
	s_delay_alu instid0(VALU_DEP_2) | instskip(NEXT) | instid1(VALU_DEP_2)
	v_mul_f16_e64 v2, v148, v0
	v_fma_f16 v0, v144, v0, -v1
	v_lshrrev_b32_e32 v1, 16, v4
	s_delay_alu instid0(VALU_DEP_3) | instskip(NEXT) | instid1(VALU_DEP_3)
	v_fmac_f16_e64 v2, v144, v6
	v_add_f16_e64 v11, v143, v0
	v_add_f16_e64 v6, v137, v159
	s_delay_alu instid0(VALU_DEP_4) | instskip(NEXT) | instid1(VALU_DEP_4)
	v_add_f16_e64 v3, v1, v137
	v_add_f16_e64 v13, v142, v2
	s_delay_alu instid0(VALU_DEP_4)
	v_fmac_f16_e64 v135, -0.5, v11
	v_add_f16_e64 v11, v134, v142
	v_sub_f16_e64 v14, v142, v2
	v_fmac_f16_e32 v1, -0.5, v6
	v_add_f16_e64 v6, v4, v136
	v_fmac_f16_e64 v134, -0.5, v13
	v_add_f16_e32 v2, v11, v2
	v_sub_f16_e64 v11, v143, v0
	v_add_f16_e32 v0, v12, v0
	v_fma_f16 v12, 0x3aee, v14, v135
	v_add_f16_e64 v3, v3, v159
	v_add_f16_e64 v6, v6, v163
	v_fma_f16 v15, 0xbaee, v11, v134
	v_fma_f16 v4, -0.5, v9, v4
	v_mul_f16_e32 v13, 0xbaee, v12
	v_mul_f16_e32 v12, 0.5, v12
	v_add_f16_e32 v69, v3, v0
	v_fmac_f16_e64 v135, 0xbaee, v14
	v_fmamk_f16 v9, v8, 0xbaee, v4
	v_fmac_f16_e32 v13, 0.5, v15
	v_fmac_f16_e32 v12, 0x3aee, v15
	v_add_f16_e32 v15, v6, v2
	v_fmac_f16_e32 v4, 0x3aee, v8
	v_fmac_f16_e64 v134, 0x3aee, v11
	v_mul_f16_e64 v8, 0xbaee, v135
	v_sub_f16_e32 v2, v6, v2
	v_pack_b32_f16 v15, v15, v69
	v_fmamk_f16 v69, v10, 0x3aee, v1
	v_fmac_f16_e32 v1, 0xbaee, v10
	v_mul_f16_e64 v10, -0.5, v135
	v_fmac_f16_e64 v8, -0.5, v134
	v_sub_f16_e32 v0, v3, v0
	v_add_f16_e32 v70, v9, v13
	v_add_f16_e32 v71, v69, v12
	v_fmac_f16_e64 v10, 0x3aee, v134
	v_add_f16_e32 v3, v4, v8
	v_pack_b32_f16 v0, v2, v0
	v_sub_f16_e32 v2, v4, v8
	v_add_f16_e32 v4, v5, v74
	v_add_f16_e32 v6, v1, v10
	v_sub_f16_e32 v1, v1, v10
	v_add_f16_e64 v8, v78, v164
	v_pack_b32_f16 v70, v70, v71
	v_add_f16_e32 v4, v4, v76
	v_pack_b32_f16 v3, v3, v6
	v_pack_b32_f16 v1, v2, v1
	v_mul_f16_e64 v2, v145, v7
	ds_store_2addr_b32 v152, v15, v70 offset1:6
	ds_store_2addr_b32 v152, v3, v0 offset0:12 offset1:18
	v_sub_f16_e32 v0, v9, v13
	v_sub_f16_e32 v3, v69, v12
	v_add_f16_e64 v12, v162, v77
	s_delay_alu instid0(VALU_DEP_2) | instskip(SKIP_3) | instid1(VALU_DEP_1)
	v_pack_b32_f16 v0, v0, v3
	v_lshrrev_b32_e32 v3, 16, v5
	ds_store_2addr_b32 v152, v0, v1 offset0:24 offset1:30
	v_lshrrev_b32_e32 v0, 16, v7
	v_mul_f16_e64 v1, v145, v0
	v_fma_f16 v0, v140, v0, -v2
	v_add_f16_e32 v2, v74, v76
	s_delay_alu instid0(VALU_DEP_3) | instskip(SKIP_1) | instid1(VALU_DEP_3)
	v_fmac_f16_e64 v1, v140, v7
	v_add_f16_e32 v7, v75, v68
	v_fmac_f16_e32 v5, -0.5, v2
	v_sub_f16_e64 v2, v162, v77
	s_delay_alu instid0(VALU_DEP_1) | instskip(SKIP_2) | instid1(VALU_DEP_1)
	v_fmamk_f16 v6, v2, 0xbaee, v5
	v_fmac_f16_e32 v5, 0x3aee, v2
	v_add_f16_e32 v2, v68, v1
	v_fmac_f16_e32 v75, -0.5, v2
	v_add_f16_e64 v2, v164, v0
	s_delay_alu instid0(VALU_DEP_1) | instskip(SKIP_2) | instid1(VALU_DEP_2)
	v_fmac_f16_e32 v78, -0.5, v2
	v_sub_f16_e32 v2, v68, v1
	v_add_f16_e32 v1, v7, v1
	v_fmamk_f16 v9, v2, 0x3aee, v78
	v_fmac_f16_e32 v78, 0xbaee, v2
	v_sub_f16_e64 v2, v164, v0
	v_add_f16_e32 v0, v8, v0
	s_delay_alu instid0(VALU_DEP_4) | instskip(SKIP_1) | instid1(VALU_DEP_4)
	v_mul_f16_e32 v7, 0xbaee, v9
	v_mul_f16_e32 v8, 0.5, v9
	v_fmamk_f16 v10, v2, 0xbaee, v75
	v_fmac_f16_e32 v75, 0x3aee, v2
	v_mul_f16_e32 v2, 0xbaee, v78
	v_add_f16_e32 v9, v4, v1
	v_sub_f16_e32 v1, v4, v1
	v_fmac_f16_e32 v7, 0.5, v10
	v_fmac_f16_e32 v8, 0x3aee, v10
	v_fmac_f16_e32 v2, -0.5, v75
	s_delay_alu instid0(VALU_DEP_3) | instskip(NEXT) | instid1(VALU_DEP_2)
	v_add_f16_e32 v13, v6, v7
	v_add_f16_e32 v11, v5, v2
	v_sub_f16_e32 v2, v5, v2
	v_add_f16_e64 v5, v3, v162
	v_fmac_f16_e32 v3, -0.5, v12
	v_sub_f16_e32 v12, v74, v76
	s_delay_alu instid0(VALU_DEP_3) | instskip(NEXT) | instid1(VALU_DEP_1)
	v_add_f16_e32 v5, v5, v77
	v_add_f16_e32 v10, v5, v0
	v_sub_f16_e32 v0, v5, v0
	s_delay_alu instid0(VALU_DEP_2) | instskip(SKIP_2) | instid1(VALU_DEP_4)
	v_pack_b32_f16 v9, v9, v10
	v_fmamk_f16 v10, v12, 0x3aee, v3
	v_fmac_f16_e32 v3, 0xbaee, v12
	v_pack_b32_f16 v0, v1, v0
	s_delay_alu instid0(VALU_DEP_3) | instskip(SKIP_1) | instid1(VALU_DEP_2)
	v_add_f16_e32 v14, v10, v8
	v_sub_f16_e32 v1, v10, v8
	v_pack_b32_f16 v13, v13, v14
	ds_store_2addr_b32 v149, v9, v13 offset1:6
	v_mul_f16_e32 v9, -0.5, v78
	s_delay_alu instid0(VALU_DEP_1) | instskip(NEXT) | instid1(VALU_DEP_1)
	v_fmac_f16_e32 v9, 0x3aee, v75
	v_add_f16_e32 v4, v3, v9
	v_sub_f16_e32 v3, v3, v9
	s_delay_alu instid0(VALU_DEP_2) | instskip(SKIP_2) | instid1(VALU_DEP_1)
	v_pack_b32_f16 v4, v11, v4
	ds_store_2addr_b32 v149, v4, v0 offset0:12 offset1:18
	v_sub_f16_e32 v0, v6, v7
	v_pack_b32_f16 v0, v0, v1
	v_pack_b32_f16 v1, v2, v3
	ds_store_2addr_b32 v149, v0, v1 offset0:24 offset1:30
	global_wb scope:SCOPE_SE
	s_wait_dscnt 0x0
	s_barrier_signal -1
	s_barrier_wait -1
	global_inv scope:SCOPE_SE
	ds_load_2addr_b32 v[0:1], v130 offset0:64 offset1:208
	s_wait_dscnt 0x0
	v_lshrrev_b32_e32 v2, 16, v0
	v_mul_f16_e64 v3, v192, v0
	s_delay_alu instid0(VALU_DEP_2) | instskip(NEXT) | instid1(VALU_DEP_2)
	v_mul_f16_e64 v8, v192, v2
	v_fma_f16 v9, v20, v2, -v3
	ds_load_2addr_b32 v[2:3], v128 offset1:144
	v_fmac_f16_e32 v8, v20, v0
	v_lshrrev_b32_e32 v0, 16, v1
	s_wait_dscnt 0x0
	v_lshrrev_b32_e32 v4, 16, v2
	v_mul_f16_e64 v5, v195, v2
	s_delay_alu instid0(VALU_DEP_2) | instskip(NEXT) | instid1(VALU_DEP_2)
	v_mul_f16_e64 v10, v195, v4
	v_fma_f16 v11, v21, v4, -v5
	ds_load_2addr_b32 v[4:5], v127 offset0:64 offset1:208
	v_fmac_f16_e32 v10, v21, v2
	v_lshrrev_b32_e32 v2, 16, v3
	s_delay_alu instid0(VALU_DEP_1) | instskip(NEXT) | instid1(VALU_DEP_1)
	v_mul_f16_e64 v20, v184, v2
	v_fmac_f16_e32 v20, v17, v3
	v_mul_f16_e64 v3, v184, v3
	s_wait_dscnt 0x0
	v_lshrrev_b32_e32 v6, 16, v4
	v_mul_f16_e64 v7, v196, v4
	s_delay_alu instid0(VALU_DEP_3) | instskip(NEXT) | instid1(VALU_DEP_3)
	v_fma_f16 v17, v17, v2, -v3
	v_mul_f16_e64 v12, v196, v6
	s_delay_alu instid0(VALU_DEP_3) | instskip(SKIP_3) | instid1(VALU_DEP_1)
	v_fma_f16 v13, v22, v6, -v7
	ds_load_2addr_b32 v[6:7], v126 offset1:144
	v_fmac_f16_e32 v12, v22, v4
	v_lshrrev_b32_e32 v4, 16, v5
	v_mul_f16_e64 v21, v186, v4
	s_delay_alu instid0(VALU_DEP_1) | instskip(SKIP_4) | instid1(VALU_DEP_3)
	v_fmac_f16_e32 v21, v18, v5
	v_mul_f16_e64 v5, v186, v5
	s_wait_dscnt 0x0
	v_lshrrev_b32_e32 v14, 16, v6
	v_mul_f16_e64 v15, v197, v6
	v_fma_f16 v18, v18, v4, -v5
	s_delay_alu instid0(VALU_DEP_3) | instskip(NEXT) | instid1(VALU_DEP_3)
	v_mul_f16_e64 v68, v197, v14
	v_fma_f16 v14, v23, v14, -v15
	v_mul_f16_e64 v15, v183, v0
	s_delay_alu instid0(VALU_DEP_3) | instskip(SKIP_1) | instid1(VALU_DEP_3)
	v_fmac_f16_e32 v68, v23, v6
	v_lshrrev_b32_e32 v6, 16, v7
	v_fmac_f16_e32 v15, v16, v1
	v_mul_f16_e64 v1, v183, v1
	v_mul_f16_e64 v23, v188, v7
	s_delay_alu instid0(VALU_DEP_4) | instskip(NEXT) | instid1(VALU_DEP_3)
	v_mul_f16_e64 v22, v188, v6
	v_fma_f16 v16, v16, v0, -v1
	ds_load_2addr_b32 v[0:1], v98 offset0:96 offset1:240
	v_fmac_f16_e32 v22, v19, v7
	v_fma_f16 v19, v19, v6, -v23
	s_wait_dscnt 0x0
	v_lshrrev_b32_e32 v2, 16, v0
	v_mul_f16_e64 v3, v213, v0
	s_delay_alu instid0(VALU_DEP_2) | instskip(NEXT) | instid1(VALU_DEP_2)
	v_mul_f16_e64 v23, v213, v2
	v_fma_f16 v69, v28, v2, -v3
	ds_load_2addr_b32 v[2:3], v97 offset0:32 offset1:176
	v_fmac_f16_e32 v23, v28, v0
	v_lshrrev_b32_e32 v0, 16, v1
	s_delay_alu instid0(VALU_DEP_1) | instskip(NEXT) | instid1(VALU_DEP_1)
	v_mul_f16_e64 v28, v209, v0
	v_fmac_f16_e32 v28, v24, v1
	v_mul_f16_e64 v1, v209, v1
	s_wait_dscnt 0x0
	v_lshrrev_b32_e32 v4, 16, v2
	v_mul_f16_e64 v5, v214, v2
	s_delay_alu instid0(VALU_DEP_3)
	v_fma_f16 v24, v24, v0, -v1
	ds_load_2addr_b32 v[0:1], v123 offset0:64 offset1:208
	v_mul_f16_e64 v70, v214, v4
	v_fma_f16 v71, v29, v4, -v5
	ds_load_2addr_b32 v[4:5], v95 offset0:96 offset1:240
	v_fmac_f16_e32 v70, v29, v2
	v_lshrrev_b32_e32 v2, 16, v3
	s_delay_alu instid0(VALU_DEP_1) | instskip(NEXT) | instid1(VALU_DEP_1)
	v_mul_f16_e64 v29, v210, v2
	v_fmac_f16_e32 v29, v25, v3
	v_mul_f16_e64 v3, v210, v3
	s_wait_dscnt 0x0
	v_lshrrev_b32_e32 v6, 16, v4
	v_mul_f16_e64 v7, v215, v4
	s_delay_alu instid0(VALU_DEP_3)
	v_fma_f16 v25, v25, v2, -v3
	v_lshrrev_b32_e32 v2, 16, v0
	v_mul_f16_e32 v3, v73, v0
	v_mul_f16_e64 v72, v215, v6
	v_fma_f16 v74, v30, v6, -v7
	ds_load_2addr_b32 v[6:7], v94 offset0:32 offset1:176
	v_fmac_f16_e32 v72, v30, v4
	v_lshrrev_b32_e32 v4, 16, v5
	s_delay_alu instid0(VALU_DEP_1) | instskip(NEXT) | instid1(VALU_DEP_1)
	v_mul_f16_e64 v30, v211, v4
	v_fmac_f16_e32 v30, v26, v5
	v_mul_f16_e64 v5, v211, v5
	s_delay_alu instid0(VALU_DEP_1)
	v_fma_f16 v26, v26, v4, -v5
	v_mul_f16_e32 v4, v73, v2
	v_fma_f16 v5, v170, v2, -v3
	ds_load_2addr_b32 v[2:3], v117 offset1:144
	s_wait_dscnt 0x1
	v_lshrrev_b32_e32 v75, 16, v6
	v_mul_f16_e64 v76, v216, v6
	v_fmac_f16_e64 v4, v170, v0
	s_delay_alu instid0(VALU_DEP_3) | instskip(NEXT) | instid1(VALU_DEP_3)
	v_mul_f16_e64 v77, v216, v75
	v_fma_f16 v75, v31, v75, -v76
	v_mul_f16_e64 v76, v212, v7
	s_delay_alu instid0(VALU_DEP_3) | instskip(SKIP_1) | instid1(VALU_DEP_1)
	v_fmac_f16_e32 v77, v31, v6
	v_lshrrev_b32_e32 v6, 16, v7
	v_mul_f16_e64 v31, v212, v6
	s_wait_dscnt 0x0
	v_lshrrev_b32_e32 v0, 16, v2
	s_delay_alu instid0(VALU_DEP_2) | instskip(SKIP_2) | instid1(VALU_DEP_4)
	v_fmac_f16_e32 v31, v27, v7
	v_fma_f16 v27, v27, v6, -v76
	v_add_f16_e32 v7, v11, v14
	v_add_f16_e32 v6, v0, v11
	v_sub_f16_e32 v11, v11, v14
	v_add_f16_e32 v76, v12, v4
	s_delay_alu instid0(VALU_DEP_4) | instskip(NEXT) | instid1(VALU_DEP_4)
	v_fmac_f16_e32 v0, -0.5, v7
	v_add_f16_e32 v14, v6, v14
	v_add_f16_e32 v6, v2, v10
	;; [unrolled: 1-line block ×3, first 2 shown]
	s_delay_alu instid0(VALU_DEP_2)
	v_add_f16_e32 v73, v6, v68
	v_add_f16_e32 v6, v10, v68
	v_sub_f16_e32 v10, v10, v68
	v_add_f16_e32 v68, v9, v13
	v_fmac_f16_e32 v9, -0.5, v7
	v_add_f16_e32 v7, v8, v12
	v_sub_f16_e32 v12, v12, v4
	v_fmac_f16_e32 v8, -0.5, v76
	v_sub_f16_e32 v13, v13, v5
	v_fma_f16 v2, -0.5, v6, v2
	v_add_f16_e32 v78, v7, v4
	v_fmamk_f16 v4, v12, 0x3aee, v9
	v_fmac_f16_e32 v9, 0xbaee, v12
	v_fma_f16 v133, 0x3aee, v10, v0
	v_fmac_f16_e32 v0, 0xbaee, v10
	v_add_f16_e32 v68, v68, v5
	v_mul_f16_e32 v76, 0xbaee, v4
	v_mul_f16_e32 v79, 0.5, v4
	v_fmamk_f16 v4, v13, 0xbaee, v8
	v_fmac_f16_e32 v8, 0x3aee, v13
	v_mul_f16_e32 v10, 0xbaee, v9
	v_mul_f16_e32 v9, -0.5, v9
	v_fma_f16 v132, 0xbaee, v11, v2
	v_fmac_f16_e32 v2, 0x3aee, v11
	v_fmac_f16_e32 v76, 0.5, v4
	v_fmac_f16_e32 v10, -0.5, v8
	v_fmac_f16_e32 v9, 0x3aee, v8
	v_fmac_f16_e32 v79, 0x3aee, v4
	v_add_f16_e32 v4, v73, v78
	v_add_f16_e32 v5, v14, v68
	v_sub_f16_e32 v8, v73, v78
	v_sub_f16_e32 v11, v14, v68
	v_add_f16_e32 v12, v2, v10
	v_add_f16_e32 v13, v0, v9
	v_pack_b32_f16 v80, v4, v5
	v_add_f16_e64 v4, v132, v76
	v_add_f16_e64 v5, v133, v79
	v_pack_b32_f16 v8, v8, v11
	v_pack_b32_f16 v12, v12, v13
	v_sub_f16_e32 v2, v2, v10
	v_sub_f16_e64 v10, v133, v79
	v_pack_b32_f16 v134, v4, v5
	ds_load_2addr_b32 v[4:5], v96 offset0:32 offset1:176
	ds_load_2addr_b32 v[6:7], v91 offset0:96 offset1:240
	global_wb scope:SCOPE_SE
	s_wait_dscnt 0x0
	s_barrier_signal -1
	s_barrier_wait -1
	global_inv scope:SCOPE_SE
	ds_store_2addr_b32 v147, v12, v8 offset0:72 offset1:108
	v_sub_f16_e64 v8, v132, v76
	v_sub_f16_e32 v0, v0, v9
	v_add_f16_e32 v9, v3, v20
	v_add_f16_e32 v11, v15, v21
	;; [unrolled: 1-line block ×3, first 2 shown]
	v_pack_b32_f16 v8, v8, v10
	v_pack_b32_f16 v0, v2, v0
	v_add_f16_e32 v9, v9, v22
	ds_store_2addr_b32 v147, v80, v134 offset1:36
	ds_store_2addr_b32 v147, v8, v0 offset0:144 offset1:180
	v_lshrrev_b32_e32 v0, 16, v1
	v_mul_f16_e64 v8, v153, v1
	s_delay_alu instid0(VALU_DEP_2) | instskip(NEXT) | instid1(VALU_DEP_2)
	v_mul_f16_e64 v2, v153, v0
	v_fma_f16 v0, v150, v0, -v8
	v_lshrrev_b32_e32 v8, 16, v3
	s_delay_alu instid0(VALU_DEP_3) | instskip(SKIP_1) | instid1(VALU_DEP_1)
	v_fmac_f16_e64 v2, v150, v1
	v_add_f16_e32 v1, v20, v22
	v_fmac_f16_e32 v3, -0.5, v1
	v_sub_f16_e32 v1, v17, v19
	s_delay_alu instid0(VALU_DEP_1) | instskip(SKIP_2) | instid1(VALU_DEP_1)
	v_fmamk_f16 v10, v1, 0xbaee, v3
	v_fmac_f16_e32 v3, 0x3aee, v1
	v_add_f16_e32 v1, v21, v2
	v_fmac_f16_e32 v15, -0.5, v1
	v_add_f16_e32 v1, v18, v0
	s_delay_alu instid0(VALU_DEP_1) | instskip(SKIP_2) | instid1(VALU_DEP_2)
	v_fmac_f16_e32 v16, -0.5, v1
	v_sub_f16_e32 v1, v21, v2
	v_add_f16_e32 v2, v11, v2
	v_fmamk_f16 v13, v1, 0x3aee, v16
	v_fmac_f16_e32 v16, 0xbaee, v1
	v_sub_f16_e32 v1, v18, v0
	v_add_f16_e32 v0, v12, v0
	s_delay_alu instid0(VALU_DEP_4) | instskip(SKIP_1) | instid1(VALU_DEP_4)
	v_mul_f16_e32 v11, 0xbaee, v13
	v_mul_f16_e32 v12, 0.5, v13
	v_fmamk_f16 v14, v1, 0xbaee, v15
	v_fmac_f16_e32 v15, 0x3aee, v1
	v_mul_f16_e32 v1, 0xbaee, v16
	v_add_f16_e32 v13, v9, v2
	v_sub_f16_e32 v2, v9, v2
	v_fmac_f16_e32 v11, 0.5, v14
	v_fmac_f16_e32 v12, 0x3aee, v14
	v_fmac_f16_e32 v1, -0.5, v15
	v_add_f16_e32 v9, v70, v77
	s_delay_alu instid0(VALU_DEP_2) | instskip(SKIP_3) | instid1(VALU_DEP_2)
	v_add_f16_e32 v18, v3, v1
	v_sub_f16_e32 v1, v3, v1
	v_add_f16_e32 v3, v8, v17
	v_add_f16_e32 v17, v17, v19
	;; [unrolled: 1-line block ×3, first 2 shown]
	s_delay_alu instid0(VALU_DEP_2) | instskip(SKIP_2) | instid1(VALU_DEP_4)
	v_fmac_f16_e32 v8, -0.5, v17
	v_sub_f16_e32 v17, v20, v22
	v_add_f16_e32 v19, v10, v11
	v_add_f16_e32 v14, v3, v0
	v_sub_f16_e32 v0, v3, v0
	s_delay_alu instid0(VALU_DEP_2) | instskip(SKIP_2) | instid1(VALU_DEP_4)
	v_pack_b32_f16 v13, v13, v14
	v_fmamk_f16 v14, v17, 0x3aee, v8
	v_fmac_f16_e32 v8, 0xbaee, v17
	v_pack_b32_f16 v0, v2, v0
	s_delay_alu instid0(VALU_DEP_3) | instskip(SKIP_2) | instid1(VALU_DEP_3)
	v_add_f16_e32 v20, v14, v12
	v_sub_f16_e32 v2, v14, v12
	v_add_f16_e32 v12, v69, v74
	v_pack_b32_f16 v19, v19, v20
	ds_store_2addr_b32 v157, v13, v19 offset1:36
	v_mul_f16_e32 v13, -0.5, v16
	s_delay_alu instid0(VALU_DEP_1) | instskip(NEXT) | instid1(VALU_DEP_1)
	v_fmac_f16_e32 v13, 0x3aee, v15
	v_add_f16_e32 v3, v8, v13
	s_delay_alu instid0(VALU_DEP_1)
	v_pack_b32_f16 v3, v18, v3
	ds_store_2addr_b32 v157, v3, v0 offset0:72 offset1:108
	v_sub_f16_e32 v0, v10, v11
	v_sub_f16_e32 v3, v8, v13
	;; [unrolled: 1-line block ×4, first 2 shown]
	s_delay_alu instid0(VALU_DEP_4) | instskip(NEXT) | instid1(VALU_DEP_4)
	v_pack_b32_f16 v0, v0, v2
	v_pack_b32_f16 v1, v1, v3
	ds_store_2addr_b32 v157, v0, v1 offset0:144 offset1:180
	v_lshrrev_b32_e32 v0, 16, v6
	v_mul_f16_e64 v1, v160, v6
	s_delay_alu instid0(VALU_DEP_2) | instskip(NEXT) | instid1(VALU_DEP_2)
	v_mul_f16_e64 v2, v160, v0
	v_fma_f16 v0, v155, v0, -v1
	v_lshrrev_b32_e32 v1, 16, v4
	s_delay_alu instid0(VALU_DEP_3) | instskip(NEXT) | instid1(VALU_DEP_3)
	v_fmac_f16_e64 v2, v155, v6
	v_add_f16_e32 v11, v74, v0
	v_add_f16_e32 v6, v71, v75
	s_delay_alu instid0(VALU_DEP_4) | instskip(NEXT) | instid1(VALU_DEP_4)
	v_add_f16_e32 v3, v1, v71
	v_add_f16_e32 v13, v72, v2
	s_delay_alu instid0(VALU_DEP_4)
	v_fmac_f16_e32 v69, -0.5, v11
	v_add_f16_e32 v11, v23, v72
	v_sub_f16_e32 v14, v72, v2
	v_fmac_f16_e32 v1, -0.5, v6
	v_add_f16_e32 v6, v4, v70
	v_fmac_f16_e32 v23, -0.5, v13
	v_add_f16_e32 v2, v11, v2
	v_sub_f16_e32 v11, v74, v0
	v_add_f16_e32 v0, v12, v0
	v_fmamk_f16 v12, v14, 0x3aee, v69
	v_add_f16_e32 v3, v3, v75
	v_add_f16_e32 v6, v6, v77
	v_fmamk_f16 v15, v11, 0xbaee, v23
	v_fma_f16 v4, -0.5, v9, v4
	v_mul_f16_e32 v13, 0xbaee, v12
	v_mul_f16_e32 v12, 0.5, v12
	v_add_f16_e32 v16, v3, v0
	v_fmac_f16_e32 v69, 0xbaee, v14
	v_fmamk_f16 v9, v8, 0xbaee, v4
	v_fmac_f16_e32 v13, 0.5, v15
	v_fmac_f16_e32 v12, 0x3aee, v15
	v_add_f16_e32 v15, v6, v2
	v_fmac_f16_e32 v4, 0x3aee, v8
	v_fmac_f16_e32 v23, 0x3aee, v11
	v_mul_f16_e32 v8, 0xbaee, v69
	v_sub_f16_e32 v2, v6, v2
	v_pack_b32_f16 v15, v15, v16
	v_fmamk_f16 v16, v10, 0x3aee, v1
	v_fmac_f16_e32 v1, 0xbaee, v10
	v_mul_f16_e32 v10, -0.5, v69
	v_fmac_f16_e32 v8, -0.5, v23
	v_sub_f16_e32 v0, v3, v0
	v_add_f16_e32 v17, v9, v13
	v_add_f16_e32 v18, v16, v12
	v_fmac_f16_e32 v10, 0x3aee, v23
	v_add_f16_e32 v3, v4, v8
	v_pack_b32_f16 v0, v2, v0
	v_sub_f16_e32 v2, v4, v8
	v_add_f16_e32 v4, v5, v29
	v_add_f16_e32 v6, v1, v10
	v_sub_f16_e32 v1, v1, v10
	v_add_f16_e32 v8, v24, v26
	v_pack_b32_f16 v17, v17, v18
	v_add_f16_e32 v4, v4, v31
	v_pack_b32_f16 v3, v3, v6
	v_pack_b32_f16 v1, v2, v1
	v_mul_f16_e64 v2, v158, v7
	ds_store_2addr_b32 v165, v15, v17 offset1:36
	ds_store_2addr_b32 v165, v3, v0 offset0:72 offset1:108
	v_sub_f16_e32 v0, v9, v13
	v_sub_f16_e32 v3, v16, v12
	v_add_f16_e32 v12, v25, v27
	s_delay_alu instid0(VALU_DEP_2) | instskip(SKIP_3) | instid1(VALU_DEP_1)
	v_pack_b32_f16 v0, v0, v3
	v_lshrrev_b32_e32 v3, 16, v5
	ds_store_2addr_b32 v165, v0, v1 offset0:144 offset1:180
	v_lshrrev_b32_e32 v0, 16, v7
	v_mul_f16_e64 v1, v158, v0
	v_fma_f16 v0, v151, v0, -v2
	v_add_f16_e32 v2, v29, v31
	s_delay_alu instid0(VALU_DEP_3) | instskip(SKIP_1) | instid1(VALU_DEP_3)
	v_fmac_f16_e64 v1, v151, v7
	v_add_f16_e32 v7, v28, v30
	v_fmac_f16_e32 v5, -0.5, v2
	v_sub_f16_e32 v2, v25, v27
	s_delay_alu instid0(VALU_DEP_1) | instskip(SKIP_2) | instid1(VALU_DEP_1)
	v_fmamk_f16 v6, v2, 0xbaee, v5
	v_fmac_f16_e32 v5, 0x3aee, v2
	v_add_f16_e32 v2, v30, v1
	v_fmac_f16_e32 v28, -0.5, v2
	v_add_f16_e32 v2, v26, v0
	s_delay_alu instid0(VALU_DEP_1) | instskip(SKIP_2) | instid1(VALU_DEP_2)
	v_fmac_f16_e32 v24, -0.5, v2
	v_sub_f16_e32 v2, v30, v1
	v_add_f16_e32 v1, v7, v1
	v_fmamk_f16 v9, v2, 0x3aee, v24
	v_fmac_f16_e32 v24, 0xbaee, v2
	v_sub_f16_e32 v2, v26, v0
	v_add_f16_e32 v0, v8, v0
	s_delay_alu instid0(VALU_DEP_4) | instskip(SKIP_1) | instid1(VALU_DEP_4)
	v_mul_f16_e32 v7, 0xbaee, v9
	v_mul_f16_e32 v8, 0.5, v9
	v_fmamk_f16 v10, v2, 0xbaee, v28
	v_fmac_f16_e32 v28, 0x3aee, v2
	v_mul_f16_e32 v2, 0xbaee, v24
	v_add_f16_e32 v9, v4, v1
	v_sub_f16_e32 v1, v4, v1
	v_fmac_f16_e32 v7, 0.5, v10
	v_fmac_f16_e32 v8, 0x3aee, v10
	v_fmac_f16_e32 v2, -0.5, v28
	s_delay_alu instid0(VALU_DEP_3) | instskip(NEXT) | instid1(VALU_DEP_2)
	v_add_f16_e32 v13, v6, v7
	v_add_f16_e32 v11, v5, v2
	v_sub_f16_e32 v2, v5, v2
	v_add_f16_e32 v5, v3, v25
	v_fmac_f16_e32 v3, -0.5, v12
	v_sub_f16_e32 v12, v29, v31
	s_delay_alu instid0(VALU_DEP_3) | instskip(NEXT) | instid1(VALU_DEP_1)
	v_add_f16_e32 v5, v5, v27
	v_add_f16_e32 v10, v5, v0
	v_sub_f16_e32 v0, v5, v0
	s_delay_alu instid0(VALU_DEP_2) | instskip(SKIP_2) | instid1(VALU_DEP_4)
	v_pack_b32_f16 v9, v9, v10
	v_fmamk_f16 v10, v12, 0x3aee, v3
	v_fmac_f16_e32 v3, 0xbaee, v12
	v_pack_b32_f16 v0, v1, v0
	s_delay_alu instid0(VALU_DEP_3) | instskip(SKIP_1) | instid1(VALU_DEP_2)
	v_add_f16_e32 v14, v10, v8
	v_sub_f16_e32 v1, v10, v8
	v_pack_b32_f16 v13, v13, v14
	ds_store_2addr_b32 v161, v9, v13 offset1:36
	v_mul_f16_e32 v9, -0.5, v24
	s_delay_alu instid0(VALU_DEP_1) | instskip(NEXT) | instid1(VALU_DEP_1)
	v_fmac_f16_e32 v9, 0x3aee, v28
	v_add_f16_e32 v4, v3, v9
	v_sub_f16_e32 v3, v3, v9
	s_delay_alu instid0(VALU_DEP_2) | instskip(SKIP_2) | instid1(VALU_DEP_1)
	v_pack_b32_f16 v4, v11, v4
	ds_store_2addr_b32 v161, v4, v0 offset0:72 offset1:108
	v_sub_f16_e32 v0, v6, v7
	v_pack_b32_f16 v0, v0, v1
	v_pack_b32_f16 v1, v2, v3
	ds_store_2addr_b32 v161, v0, v1 offset0:144 offset1:180
	global_wb scope:SCOPE_SE
	s_wait_dscnt 0x0
	s_barrier_signal -1
	s_barrier_wait -1
	global_inv scope:SCOPE_SE
	ds_load_2addr_b32 v[0:1], v98 offset0:96 offset1:240
	s_wait_dscnt 0x0
	v_lshrrev_b32_e32 v2, 16, v0
	v_mul_f16_e64 v3, v207, v0
	s_delay_alu instid0(VALU_DEP_2) | instskip(NEXT) | instid1(VALU_DEP_2)
	v_mul_f16_e64 v6, v207, v2
	v_fma_f16 v7, v32, v2, -v3
	ds_load_2addr_b32 v[2:3], v127 offset0:64 offset1:208
	v_fmac_f16_e32 v6, v32, v0
	v_lshrrev_b32_e32 v0, 16, v1
	s_wait_dscnt 0x0
	v_lshrrev_b32_e32 v4, 16, v2
	v_mul_f16_e64 v5, v208, v2
	s_delay_alu instid0(VALU_DEP_2) | instskip(NEXT) | instid1(VALU_DEP_2)
	v_mul_f16_e64 v8, v208, v4
	v_fma_f16 v9, v33, v4, -v5
	ds_load_2addr_b32 v[4:5], v94 offset0:32 offset1:176
	v_fmac_f16_e32 v8, v33, v2
	v_lshrrev_b32_e32 v2, 16, v3
	s_delay_alu instid0(VALU_DEP_1) | instskip(NEXT) | instid1(VALU_DEP_1)
	v_mul_f16_e64 v13, v218, v2
	v_fmac_f16_e32 v13, v54, v3
	v_mul_f16_e64 v3, v218, v3
	s_wait_dscnt 0x0
	v_lshrrev_b32_e32 v10, 16, v4
	v_mul_f16_e64 v11, v206, v4
	s_delay_alu instid0(VALU_DEP_3) | instskip(SKIP_1) | instid1(VALU_DEP_4)
	v_fma_f16 v17, v54, v2, -v3
	v_mul_f16_e64 v15, v217, v5
	v_mul_f16_e64 v12, v206, v10
	s_delay_alu instid0(VALU_DEP_4) | instskip(SKIP_1) | instid1(VALU_DEP_3)
	v_fma_f16 v10, v34, v10, -v11
	v_mul_f16_e64 v11, v219, v0
	v_fmac_f16_e32 v12, v34, v4
	v_lshrrev_b32_e32 v4, 16, v5
	s_delay_alu instid0(VALU_DEP_3) | instskip(SKIP_1) | instid1(VALU_DEP_3)
	v_fmac_f16_e32 v11, v53, v1
	v_mul_f16_e64 v1, v219, v1
	v_mul_f16_e64 v14, v217, v4
	v_fma_f16 v15, v55, v4, -v15
	s_delay_alu instid0(VALU_DEP_3)
	v_fma_f16 v16, v53, v0, -v1
	ds_load_2addr_b32 v[0:1], v128 offset1:144
	v_fmac_f16_e32 v14, v55, v5
	s_wait_dscnt 0x0
	v_lshrrev_b32_e32 v2, 16, v0
	v_mul_f16_e64 v3, v222, v0
	s_delay_alu instid0(VALU_DEP_2) | instskip(NEXT) | instid1(VALU_DEP_2)
	v_mul_f16_e64 v18, v222, v2
	v_fma_f16 v19, v44, v2, -v3
	ds_load_2addr_b32 v[2:3], v95 offset0:96 offset1:240
	v_fmac_f16_e32 v18, v44, v0
	v_lshrrev_b32_e32 v0, 16, v1
	s_wait_dscnt 0x0
	v_lshrrev_b32_e32 v4, 16, v2
	v_mul_f16_e64 v5, v221, v2
	s_delay_alu instid0(VALU_DEP_2) | instskip(NEXT) | instid1(VALU_DEP_2)
	v_mul_f16_e64 v20, v221, v4
	v_fma_f16 v21, v45, v4, -v5
	ds_load_2addr_b32 v[4:5], v123 offset0:64 offset1:208
	v_fmac_f16_e32 v20, v45, v2
	v_lshrrev_b32_e32 v2, 16, v3
	s_delay_alu instid0(VALU_DEP_1) | instskip(NEXT) | instid1(VALU_DEP_1)
	v_mul_f16_e64 v25, v224, v2
	v_fmac_f16_e32 v25, v51, v3
	v_mul_f16_e64 v3, v224, v3
	s_wait_dscnt 0x0
	v_lshrrev_b32_e32 v22, 16, v4
	v_mul_f16_e64 v23, v220, v4
	s_delay_alu instid0(VALU_DEP_3) | instskip(SKIP_1) | instid1(VALU_DEP_4)
	v_fma_f16 v29, v51, v2, -v3
	v_mul_f16_e64 v27, v223, v5
	v_mul_f16_e64 v24, v220, v22
	s_delay_alu instid0(VALU_DEP_4) | instskip(SKIP_1) | instid1(VALU_DEP_3)
	v_fma_f16 v22, v46, v22, -v23
	v_mul_f16_e64 v23, v225, v0
	v_fmac_f16_e32 v24, v46, v4
	v_lshrrev_b32_e32 v4, 16, v5
	s_delay_alu instid0(VALU_DEP_3) | instskip(SKIP_1) | instid1(VALU_DEP_3)
	v_fmac_f16_e32 v23, v50, v1
	v_mul_f16_e64 v1, v225, v1
	v_mul_f16_e64 v26, v223, v4
	v_fma_f16 v27, v52, v4, -v27
	s_delay_alu instid0(VALU_DEP_3)
	v_fma_f16 v28, v50, v0, -v1
	ds_load_2addr_b32 v[0:1], v97 offset0:32 offset1:176
	v_fmac_f16_e32 v26, v52, v5
	s_wait_dscnt 0x0
	v_lshrrev_b32_e32 v2, 16, v0
	v_mul_f16_e64 v3, v228, v0
	s_delay_alu instid0(VALU_DEP_2) | instskip(NEXT) | instid1(VALU_DEP_2)
	v_mul_f16_e64 v30, v228, v2
	v_fma_f16 v31, v47, v2, -v3
	ds_load_2addr_b32 v[2:3], v126 offset1:144
	v_fmac_f16_e32 v30, v47, v0
	v_lshrrev_b32_e32 v0, 16, v1
	s_wait_dscnt 0x0
	v_lshrrev_b32_e32 v4, 16, v2
	v_mul_f16_e64 v5, v227, v2
	s_delay_alu instid0(VALU_DEP_2) | instskip(NEXT) | instid1(VALU_DEP_2)
	v_mul_f16_e64 v32, v227, v4
	v_fma_f16 v33, v48, v4, -v5
	ds_load_2addr_b32 v[4:5], v91 offset0:96 offset1:240
	v_fmac_f16_e32 v32, v48, v2
	v_lshrrev_b32_e32 v2, 16, v3
	s_delay_alu instid0(VALU_DEP_1) | instskip(NEXT) | instid1(VALU_DEP_1)
	v_mul_f16_e64 v46, v230, v2
	v_fmac_f16_e32 v46, v42, v3
	v_mul_f16_e64 v3, v230, v3
	s_wait_dscnt 0x0
	v_lshrrev_b32_e32 v34, 16, v4
	v_mul_f16_e64 v44, v226, v4
	v_mul_f16_e64 v48, v229, v5
	v_fma_f16 v42, v42, v2, -v3
	s_delay_alu instid0(VALU_DEP_4) | instskip(NEXT) | instid1(VALU_DEP_4)
	v_mul_f16_e64 v45, v226, v34
	v_fma_f16 v34, v49, v34, -v44
	v_mul_f16_e64 v44, v231, v0
	s_delay_alu instid0(VALU_DEP_3) | instskip(SKIP_1) | instid1(VALU_DEP_3)
	v_fmac_f16_e32 v45, v49, v4
	v_lshrrev_b32_e32 v4, 16, v5
	v_fmac_f16_e32 v44, v41, v1
	v_mul_f16_e64 v1, v231, v1
	s_delay_alu instid0(VALU_DEP_3) | instskip(NEXT) | instid1(VALU_DEP_2)
	v_mul_f16_e64 v47, v229, v4
	v_fma_f16 v41, v41, v0, -v1
	ds_load_2addr_b32 v[0:1], v117 offset1:144
	v_fmac_f16_e32 v47, v43, v5
	v_fma_f16 v43, v43, v4, -v48
	v_sub_f16_e32 v4, v6, v12
	v_sub_f16_e32 v5, v7, v10
	s_delay_alu instid0(VALU_DEP_2) | instskip(NEXT) | instid1(VALU_DEP_2)
	v_fma_f16 v6, v6, 2.0, -v4
	v_fma_f16 v7, v7, 2.0, -v5
	s_wait_dscnt 0x0
	v_lshrrev_b32_e32 v2, 16, v0
	v_sub_f16_e32 v8, v0, v8
	s_delay_alu instid0(VALU_DEP_2) | instskip(NEXT) | instid1(VALU_DEP_2)
	v_sub_f16_e32 v3, v2, v9
	v_fma_f16 v0, v0, 2.0, -v8
	v_add_f16_e32 v9, v8, v5
	s_delay_alu instid0(VALU_DEP_3) | instskip(NEXT) | instid1(VALU_DEP_3)
	v_fma_f16 v2, v2, 2.0, -v3
	v_sub_f16_e32 v6, v0, v6
	v_sub_f16_e32 v10, v3, v4
	s_delay_alu instid0(VALU_DEP_3) | instskip(NEXT) | instid1(VALU_DEP_3)
	v_sub_f16_e32 v7, v2, v7
	v_fma_f16 v0, v0, 2.0, -v6
	s_delay_alu instid0(VALU_DEP_3) | instskip(NEXT) | instid1(VALU_DEP_3)
	v_fma_f16 v3, v3, 2.0, -v10
	v_fma_f16 v2, v2, 2.0, -v7
	s_delay_alu instid0(VALU_DEP_1) | instskip(SKIP_1) | instid1(VALU_DEP_1)
	v_pack_b32_f16 v0, v0, v2
	v_fma_f16 v2, v8, 2.0, -v9
	v_pack_b32_f16 v8, v2, v3
	ds_load_2addr_b32 v[2:3], v96 offset0:32 offset1:176
	ds_load_2addr_b32 v[4:5], v130 offset0:64 offset1:208
	global_wb scope:SCOPE_SE
	s_wait_dscnt 0x0
	s_barrier_signal -1
	s_barrier_wait -1
	global_inv scope:SCOPE_SE
	ds_store_2addr_b32 v117, v0, v8 offset1:216
	v_pack_b32_f16 v0, v6, v7
	v_pack_b32_f16 v6, v9, v10
	v_sub_f16_e32 v8, v11, v14
	v_sub_f16_e32 v9, v16, v15
	ds_store_2addr_b32 v102, v0, v6 offset0:16 offset1:232
	v_lshrrev_b32_e32 v6, 16, v1
	v_sub_f16_e32 v0, v1, v13
	v_fma_f16 v10, v11, 2.0, -v8
	v_fma_f16 v11, v16, 2.0, -v9
	s_delay_alu instid0(VALU_DEP_4) | instskip(NEXT) | instid1(VALU_DEP_4)
	v_sub_f16_e32 v7, v6, v17
	v_fma_f16 v1, v1, 2.0, -v0
	s_delay_alu instid0(VALU_DEP_2) | instskip(NEXT) | instid1(VALU_DEP_2)
	v_fma_f16 v6, v6, 2.0, -v7
	v_sub_f16_e32 v10, v1, v10
	v_sub_f16_e32 v8, v7, v8
	s_delay_alu instid0(VALU_DEP_3) | instskip(NEXT) | instid1(VALU_DEP_3)
	v_sub_f16_e32 v11, v6, v11
	v_fma_f16 v1, v1, 2.0, -v10
	s_delay_alu instid0(VALU_DEP_3) | instskip(NEXT) | instid1(VALU_DEP_3)
	v_fma_f16 v7, v7, 2.0, -v8
	v_fma_f16 v6, v6, 2.0, -v11
	s_delay_alu instid0(VALU_DEP_1) | instskip(SKIP_1) | instid1(VALU_DEP_1)
	v_pack_b32_f16 v1, v1, v6
	v_add_f16_e32 v6, v0, v9
	v_fma_f16 v0, v0, 2.0, -v6
	s_delay_alu instid0(VALU_DEP_1)
	v_pack_b32_f16 v0, v0, v7
	v_sub_f16_e32 v7, v19, v22
	ds_store_2addr_b32 v177, v1, v0 offset1:216
	v_pack_b32_f16 v0, v10, v11
	v_pack_b32_f16 v1, v6, v8
	v_sub_f16_e32 v6, v18, v24
	v_sub_f16_e32 v8, v2, v20
	v_fma_f16 v10, v19, 2.0, -v7
	ds_store_2addr_b32 v182, v0, v1 offset0:16 offset1:232
	v_lshrrev_b32_e32 v0, 16, v2
	v_fma_f16 v9, v18, 2.0, -v6
	v_fma_f16 v2, v2, 2.0, -v8
	s_delay_alu instid0(VALU_DEP_3) | instskip(NEXT) | instid1(VALU_DEP_2)
	v_sub_f16_e32 v1, v0, v21
	v_sub_f16_e32 v9, v2, v9
	s_delay_alu instid0(VALU_DEP_2) | instskip(SKIP_1) | instid1(VALU_DEP_3)
	v_fma_f16 v0, v0, 2.0, -v1
	v_sub_f16_e32 v6, v1, v6
	v_fma_f16 v2, v2, 2.0, -v9
	s_delay_alu instid0(VALU_DEP_3) | instskip(NEXT) | instid1(VALU_DEP_3)
	v_sub_f16_e32 v10, v0, v10
	v_fma_f16 v1, v1, 2.0, -v6
	s_delay_alu instid0(VALU_DEP_2) | instskip(NEXT) | instid1(VALU_DEP_1)
	v_fma_f16 v0, v0, 2.0, -v10
	v_pack_b32_f16 v0, v2, v0
	v_add_f16_e32 v2, v8, v7
	s_delay_alu instid0(VALU_DEP_1) | instskip(NEXT) | instid1(VALU_DEP_1)
	v_fma_f16 v7, v8, 2.0, -v2
	v_pack_b32_f16 v1, v7, v1
	v_sub_f16_e32 v7, v28, v27
	ds_store_2addr_b32 v185, v0, v1 offset0:8 offset1:224
	v_pack_b32_f16 v0, v9, v10
	v_pack_b32_f16 v1, v2, v6
	v_sub_f16_e32 v6, v23, v26
	v_fma_f16 v9, v28, 2.0, -v7
	ds_store_2addr_b32 v187, v0, v1 offset0:24 offset1:240
	v_sub_f16_e32 v0, v3, v25
	v_lshrrev_b32_e32 v1, 16, v3
	v_fma_f16 v8, v23, 2.0, -v6
	s_delay_alu instid0(VALU_DEP_3) | instskip(NEXT) | instid1(VALU_DEP_3)
	v_fma_f16 v2, v3, 2.0, -v0
	v_sub_f16_e32 v3, v1, v29
	s_delay_alu instid0(VALU_DEP_2) | instskip(NEXT) | instid1(VALU_DEP_2)
	v_sub_f16_e32 v8, v2, v8
	v_fma_f16 v1, v1, 2.0, -v3
	v_sub_f16_e32 v6, v3, v6
	s_delay_alu instid0(VALU_DEP_3) | instskip(NEXT) | instid1(VALU_DEP_3)
	v_fma_f16 v2, v2, 2.0, -v8
	v_sub_f16_e32 v9, v1, v9
	s_delay_alu instid0(VALU_DEP_3) | instskip(NEXT) | instid1(VALU_DEP_2)
	v_fma_f16 v3, v3, 2.0, -v6
	v_fma_f16 v1, v1, 2.0, -v9
	s_delay_alu instid0(VALU_DEP_1) | instskip(SKIP_1) | instid1(VALU_DEP_1)
	v_pack_b32_f16 v1, v2, v1
	v_add_f16_e32 v2, v0, v7
	v_fma_f16 v0, v0, 2.0, -v2
	s_delay_alu instid0(VALU_DEP_1)
	v_pack_b32_f16 v0, v0, v3
	v_sub_f16_e32 v3, v31, v34
	ds_store_2addr_b32 v193, v1, v0 offset1:216
	v_pack_b32_f16 v0, v8, v9
	v_pack_b32_f16 v1, v2, v6
	v_sub_f16_e32 v2, v30, v45
	v_sub_f16_e32 v6, v4, v32
	v_fma_f16 v8, v31, 2.0, -v3
	ds_store_2addr_b32 v194, v0, v1 offset0:16 offset1:232
	v_lshrrev_b32_e32 v0, 16, v4
	v_fma_f16 v7, v30, 2.0, -v2
	v_fma_f16 v4, v4, 2.0, -v6
	v_add_f16_e32 v3, v6, v3
	s_delay_alu instid0(VALU_DEP_4) | instskip(NEXT) | instid1(VALU_DEP_3)
	v_sub_f16_e32 v1, v0, v33
	v_sub_f16_e32 v7, v4, v7
	s_delay_alu instid0(VALU_DEP_2) | instskip(SKIP_1) | instid1(VALU_DEP_3)
	v_fma_f16 v0, v0, 2.0, -v1
	v_sub_f16_e32 v2, v1, v2
	v_fma_f16 v4, v4, 2.0, -v7
	s_delay_alu instid0(VALU_DEP_3) | instskip(NEXT) | instid1(VALU_DEP_3)
	v_sub_f16_e32 v8, v0, v8
	v_fma_f16 v1, v1, 2.0, -v2
	s_delay_alu instid0(VALU_DEP_2) | instskip(NEXT) | instid1(VALU_DEP_1)
	v_fma_f16 v0, v0, 2.0, -v8
	v_pack_b32_f16 v0, v4, v0
	v_fma_f16 v4, v6, 2.0, -v3
	s_delay_alu instid0(VALU_DEP_1)
	v_pack_b32_f16 v1, v4, v1
	v_sub_f16_e32 v4, v44, v47
	ds_store_2addr_b32 v190, v0, v1 offset1:216
	v_pack_b32_f16 v0, v7, v8
	v_pack_b32_f16 v1, v3, v2
	v_fma_f16 v6, v44, 2.0, -v4
	ds_store_2addr_b32 v191, v0, v1 offset0:16 offset1:232
	v_sub_f16_e32 v0, v5, v46
	v_lshrrev_b32_e32 v1, 16, v5
	s_delay_alu instid0(VALU_DEP_2) | instskip(NEXT) | instid1(VALU_DEP_2)
	v_fma_f16 v2, v5, 2.0, -v0
	v_sub_f16_e32 v3, v1, v42
	v_sub_f16_e32 v5, v41, v43
	s_delay_alu instid0(VALU_DEP_3) | instskip(NEXT) | instid1(VALU_DEP_3)
	v_sub_f16_e32 v6, v2, v6
	v_fma_f16 v1, v1, 2.0, -v3
	s_delay_alu instid0(VALU_DEP_3) | instskip(SKIP_1) | instid1(VALU_DEP_4)
	v_fma_f16 v7, v41, 2.0, -v5
	v_sub_f16_e32 v4, v3, v4
	v_fma_f16 v2, v2, 2.0, -v6
	s_delay_alu instid0(VALU_DEP_3) | instskip(NEXT) | instid1(VALU_DEP_3)
	v_sub_f16_e32 v7, v1, v7
	v_fma_f16 v3, v3, 2.0, -v4
	s_delay_alu instid0(VALU_DEP_2) | instskip(NEXT) | instid1(VALU_DEP_1)
	v_fma_f16 v1, v1, 2.0, -v7
	v_pack_b32_f16 v1, v2, v1
	v_add_f16_e32 v2, v0, v5
	s_delay_alu instid0(VALU_DEP_1) | instskip(NEXT) | instid1(VALU_DEP_1)
	v_fma_f16 v0, v0, 2.0, -v2
	v_pack_b32_f16 v0, v0, v3
	ds_store_2addr_b32 v199, v1, v0 offset0:32 offset1:248
	v_pack_b32_f16 v0, v6, v7
	v_pack_b32_f16 v1, v2, v4
	ds_store_2addr_b32 v200, v0, v1 offset0:16 offset1:232
	global_wb scope:SCOPE_SE
	s_wait_dscnt 0x0
	s_barrier_signal -1
	s_barrier_wait -1
	global_inv scope:SCOPE_SE
	ds_load_2addr_b32 v[0:1], v98 offset0:96 offset1:240
	s_wait_dscnt 0x0
	v_lshrrev_b32_e32 v2, 16, v0
	v_mul_f16_e64 v3, v203, v0
	s_delay_alu instid0(VALU_DEP_2) | instskip(NEXT) | instid1(VALU_DEP_2)
	v_mul_f16_e64 v6, v203, v2
	v_fma_f16 v7, v38, v2, -v3
	ds_load_2addr_b32 v[2:3], v127 offset0:64 offset1:208
	v_fmac_f16_e32 v6, v38, v0
	v_lshrrev_b32_e32 v0, 16, v1
	s_delay_alu instid0(VALU_DEP_1) | instskip(NEXT) | instid1(VALU_DEP_1)
	v_mul_f16_e64 v24, v198, v0
	v_fmac_f16_e32 v24, v35, v1
	v_mul_f16_e64 v1, v198, v1
	s_wait_dscnt 0x0
	v_lshrrev_b32_e32 v4, 16, v2
	v_mul_f16_e64 v5, v204, v2
	s_delay_alu instid0(VALU_DEP_3)
	v_fma_f16 v27, v35, v0, -v1
	ds_load_2addr_b32 v[0:1], v128 offset1:144
	v_mul_f16_e64 v8, v204, v4
	v_fma_f16 v21, v39, v4, -v5
	ds_load_2addr_b32 v[4:5], v94 offset0:32 offset1:176
	v_fmac_f16_e32 v8, v39, v2
	v_lshrrev_b32_e32 v2, 16, v3
	s_delay_alu instid0(VALU_DEP_1) | instskip(NEXT) | instid1(VALU_DEP_1)
	v_mul_f16_e64 v25, v201, v2
	v_fmac_f16_e32 v25, v36, v3
	v_mul_f16_e64 v3, v201, v3
	s_wait_dscnt 0x0
	v_lshrrev_b32_e32 v9, 16, v4
	v_mul_f16_e64 v10, v205, v4
	s_delay_alu instid0(VALU_DEP_3)
	v_fma_f16 v28, v36, v2, -v3
	v_lshrrev_b32_e32 v2, 16, v0
	v_mul_f16_e64 v3, v234, v0
	v_mul_f16_e64 v22, v205, v9
	v_fma_f16 v23, v40, v9, -v10
	v_mul_f16_e64 v9, v202, v5
	s_delay_alu instid0(VALU_DEP_4) | instskip(NEXT) | instid1(VALU_DEP_4)
	v_fma_f16 v10, v56, v2, -v3
	v_fmac_f16_e32 v22, v40, v4
	v_lshrrev_b32_e32 v4, 16, v5
	s_delay_alu instid0(VALU_DEP_1)
	v_fma_f16 v29, v37, v4, -v9
	v_mul_f16_e64 v9, v234, v2
	ds_load_2addr_b32 v[2:3], v95 offset0:96 offset1:240
	v_mul_f16_e64 v26, v202, v4
	v_fmac_f16_e32 v9, v56, v0
	v_lshrrev_b32_e32 v0, 16, v1
	s_delay_alu instid0(VALU_DEP_3) | instskip(SKIP_3) | instid1(VALU_DEP_2)
	v_fmac_f16_e32 v26, v37, v5
	s_wait_dscnt 0x0
	v_lshrrev_b32_e32 v4, 16, v2
	v_mul_f16_e64 v5, v235, v2
	v_mul_f16_e64 v30, v235, v4
	s_delay_alu instid0(VALU_DEP_2) | instskip(SKIP_3) | instid1(VALU_DEP_1)
	v_fma_f16 v31, v57, v4, -v5
	ds_load_2addr_b32 v[4:5], v123 offset0:64 offset1:208
	v_fmac_f16_e32 v30, v57, v2
	v_lshrrev_b32_e32 v2, 16, v3
	v_mul_f16_e64 v34, v236, v2
	s_delay_alu instid0(VALU_DEP_1) | instskip(SKIP_4) | instid1(VALU_DEP_3)
	v_fmac_f16_e32 v34, v60, v3
	v_mul_f16_e64 v3, v236, v3
	s_wait_dscnt 0x0
	v_lshrrev_b32_e32 v11, 16, v4
	v_mul_f16_e64 v12, v232, v4
	v_fma_f16 v36, v60, v2, -v3
	s_delay_alu instid0(VALU_DEP_3) | instskip(NEXT) | instid1(VALU_DEP_3)
	v_mul_f16_e64 v32, v232, v11
	v_fma_f16 v33, v58, v11, -v12
	v_mul_f16_e64 v11, v237, v0
	v_mul_f16_e64 v12, v233, v5
	s_delay_alu instid0(VALU_DEP_4) | instskip(SKIP_1) | instid1(VALU_DEP_4)
	v_fmac_f16_e32 v32, v58, v4
	v_lshrrev_b32_e32 v4, 16, v5
	v_fmac_f16_e32 v11, v59, v1
	v_mul_f16_e64 v1, v237, v1
	s_delay_alu instid0(VALU_DEP_3) | instskip(SKIP_1) | instid1(VALU_DEP_3)
	v_fma_f16 v37, v61, v4, -v12
	v_mul_f16_e64 v35, v233, v4
	v_fma_f16 v13, v59, v0, -v1
	ds_load_2addr_b32 v[0:1], v97 offset0:32 offset1:176
	v_fmac_f16_e32 v35, v61, v5
	v_sub_f16_e32 v37, v13, v37
	s_delay_alu instid0(VALU_DEP_2) | instskip(SKIP_3) | instid1(VALU_DEP_2)
	v_sub_f16_e32 v38, v11, v35
	s_wait_dscnt 0x0
	v_lshrrev_b32_e32 v2, 16, v0
	v_mul_f16_e64 v3, v242, v0
	v_mul_f16_e64 v14, v242, v2
	s_delay_alu instid0(VALU_DEP_2)
	v_fma_f16 v12, v65, v2, -v3
	ds_load_2addr_b32 v[2:3], v126 offset1:144
	v_fmac_f16_e32 v14, v65, v0
	v_lshrrev_b32_e32 v0, 16, v1
	s_wait_dscnt 0x0
	v_lshrrev_b32_e32 v4, 16, v2
	v_mul_f16_e64 v5, v243, v2
	s_delay_alu instid0(VALU_DEP_2) | instskip(NEXT) | instid1(VALU_DEP_2)
	v_mul_f16_e64 v42, v243, v4
	v_fma_f16 v43, v66, v4, -v5
	ds_load_2addr_b32 v[4:5], v91 offset0:96 offset1:240
	v_fmac_f16_e32 v42, v66, v2
	v_lshrrev_b32_e32 v2, 16, v3
	s_wait_dscnt 0x0
	v_lshrrev_b32_e32 v15, 16, v4
	v_mul_f16_e64 v16, v240, v4
	v_mul_f16_e64 v20, v238, v5
	s_delay_alu instid0(VALU_DEP_3) | instskip(NEXT) | instid1(VALU_DEP_3)
	v_mul_f16_e64 v44, v240, v15
	v_fma_f16 v45, v67, v15, -v16
	v_mul_f16_e64 v15, v241, v0
	v_mul_f16_e64 v16, v239, v2
	s_delay_alu instid0(VALU_DEP_4) | instskip(SKIP_1) | instid1(VALU_DEP_4)
	v_fmac_f16_e32 v44, v67, v4
	v_lshrrev_b32_e32 v4, 16, v5
	v_fmac_f16_e32 v15, v62, v1
	v_mul_f16_e64 v1, v241, v1
	v_fmac_f16_e32 v16, v63, v3
	v_mul_f16_e64 v3, v239, v3
	v_mul_f16_e64 v17, v238, v4
	v_fma_f16 v20, v64, v4, -v20
	v_fma_f16 v18, v62, v0, -v1
	ds_load_2addr_b32 v[0:1], v117 offset1:144
	v_fma_f16 v19, v63, v2, -v3
	v_fmac_f16_e32 v17, v64, v5
	s_wait_dscnt 0x0
	v_lshrrev_b32_e32 v3, 16, v0
	v_sub_f16_e32 v2, v0, v8
	v_lshrrev_b32_e32 v5, 16, v1
	v_sub_f16_e32 v4, v1, v25
	v_sub_f16_e32 v25, v27, v29
	;; [unrolled: 1-line block ×5, first 2 shown]
	v_fma_f16 v0, v0, 2.0, -v2
	v_fma_f16 v1, v1, 2.0, -v4
	;; [unrolled: 1-line block ×5, first 2 shown]
	v_sub_f16_e32 v29, v9, v32
	s_delay_alu instid0(VALU_DEP_3) | instskip(NEXT) | instid1(VALU_DEP_3)
	v_sub_f16_e32 v6, v0, v6
	v_sub_f16_e32 v7, v3, v7
	s_delay_alu instid0(VALU_DEP_2) | instskip(NEXT) | instid1(VALU_DEP_2)
	v_fma_f16 v0, v0, 2.0, -v6
	v_fma_f16 v3, v3, 2.0, -v7
	v_pack_b32_f16 v6, v6, v7
	s_delay_alu instid0(VALU_DEP_2) | instskip(SKIP_4) | instid1(VALU_DEP_4)
	v_pack_b32_f16 v23, v0, v3
	v_add_f16_e32 v0, v2, v22
	v_sub_f16_e32 v3, v8, v21
	v_sub_f16_e32 v21, v24, v26
	;; [unrolled: 1-line block ×3, first 2 shown]
	v_fma_f16 v2, v2, 2.0, -v0
	s_delay_alu instid0(VALU_DEP_4) | instskip(SKIP_3) | instid1(VALU_DEP_4)
	v_fma_f16 v8, v8, 2.0, -v3
	v_pack_b32_f16 v7, v0, v3
	v_fma_f16 v0, v24, 2.0, -v21
	v_fma_f16 v3, v27, 2.0, -v25
	v_pack_b32_f16 v8, v2, v8
	v_fma_f16 v2, v5, 2.0, -v22
	s_delay_alu instid0(VALU_DEP_4) | instskip(NEXT) | instid1(VALU_DEP_2)
	v_sub_f16_e32 v5, v1, v0
	v_sub_f16_e32 v24, v2, v3
	s_delay_alu instid0(VALU_DEP_2) | instskip(NEXT) | instid1(VALU_DEP_2)
	v_fma_f16 v0, v1, 2.0, -v5
	v_fma_f16 v1, v2, 2.0, -v24
	v_pack_b32_f16 v5, v5, v24
	s_delay_alu instid0(VALU_DEP_2)
	v_pack_b32_f16 v26, v0, v1
	ds_load_2addr_b32 v[2:3], v96 offset0:32 offset1:176
	ds_load_2addr_b32 v[0:1], v130 offset0:64 offset1:208
	ds_store_b32 v117, v8 offset:3456
	ds_store_b32 v117, v6 offset:6912
	;; [unrolled: 1-line block ×3, first 2 shown]
	ds_store_2addr_b32 v117, v23, v26 offset1:144
	v_add_f16_e32 v6, v4, v25
	v_sub_f16_e32 v7, v22, v21
	v_sub_f16_e32 v26, v10, v33
	;; [unrolled: 1-line block ×3, first 2 shown]
	s_delay_alu instid0(VALU_DEP_4) | instskip(NEXT) | instid1(VALU_DEP_4)
	v_fma_f16 v4, v4, 2.0, -v6
	v_fma_f16 v8, v22, 2.0, -v7
	v_pack_b32_f16 v6, v6, v7
	s_delay_alu instid0(VALU_DEP_2)
	v_pack_b32_f16 v4, v4, v8
	s_wait_dscnt 0x5
	v_lshrrev_b32_e32 v25, 16, v2
	v_sub_f16_e32 v27, v2, v30
	v_lshrrev_b32_e32 v39, 16, v3
	v_sub_f16_e32 v41, v3, v34
	s_wait_dscnt 0x4
	v_lshrrev_b32_e32 v35, 16, v0
	v_sub_f16_e32 v28, v25, v31
	v_add_f16_e32 v21, v27, v26
	v_sub_f16_e32 v40, v39, v36
	v_add_f16_e32 v30, v41, v37
	v_sub_f16_e32 v31, v0, v42
	v_sub_f16_e32 v22, v28, v29
	v_fma_f16 v7, v27, 2.0, -v21
	v_sub_f16_e32 v32, v40, v38
	v_sub_f16_e32 v34, v14, v44
	;; [unrolled: 1-line block ×3, first 2 shown]
	v_fma_f16 v8, v28, 2.0, -v22
	v_add_f16_e32 v23, v31, v33
	v_mad_co_u64_u32 v[42:43], null, s8, v118, 0
	s_delay_alu instid0(VALU_DEP_4) | instskip(NEXT) | instid1(VALU_DEP_4)
	v_sub_f16_e32 v24, v36, v34
	v_pack_b32_f16 v7, v7, v8
	ds_store_b32 v117, v5 offset:7488
	ds_store_b32 v117, v6 offset:10944
	ds_store_2addr_b32 v189, v4, v7 offset0:48 offset1:192
	v_fma_f16 v4, v41, 2.0, -v30
	v_fma_f16 v5, v40, 2.0, -v32
	v_fma_f16 v6, v36, 2.0, -v24
	v_fma_f16 v2, v2, 2.0, -v27
	v_fma_f16 v3, v3, 2.0, -v41
	v_fma_f16 v0, v0, 2.0, -v31
	v_pack_b32_f16 v4, v4, v5
	v_fma_f16 v5, v31, 2.0, -v23
	s_delay_alu instid0(VALU_DEP_1) | instskip(SKIP_2) | instid1(VALU_DEP_1)
	v_pack_b32_f16 v5, v5, v6
	ds_store_2addr_b32 v131, v4, v5 offset0:16 offset1:160
	v_mad_co_u64_u32 v[4:5], null, s10, v92, 0
	v_mad_co_u64_u32 v[5:6], null, s11, v92, v[5:6]
	;; [unrolled: 1-line block ×3, first 2 shown]
	s_mov_b32 s10, 0xbda12f68
	s_mov_b32 s11, 0x3f32f684
	s_delay_alu instid0(VALU_DEP_2) | instskip(NEXT) | instid1(VALU_DEP_2)
	v_lshlrev_b64_e32 v[4:5], 2, v[4:5]
	v_mad_co_u64_u32 v[7:8], null, s9, v129, v[7:8]
	v_mov_b32_e32 v8, v43
	s_delay_alu instid0(VALU_DEP_1) | instskip(NEXT) | instid1(VALU_DEP_4)
	v_mad_co_u64_u32 v[43:44], null, s9, v118, v[8:9]
	v_add_co_u32 v8, vcc_lo, s0, v4
	s_wait_alu 0xfffd
	v_add_co_ci_u32_e32 v46, vcc_lo, s1, v5, vcc_lo
	v_lshlrev_b64_e32 v[4:5], 2, v[6:7]
	v_fma_f16 v6, v10, 2.0, -v26
	v_fma_f16 v10, v39, 2.0, -v40
	s_delay_alu instid0(VALU_DEP_3) | instskip(SKIP_1) | instid1(VALU_DEP_4)
	v_add_co_u32 v44, vcc_lo, v8, v4
	s_wait_alu 0xfffd
	v_add_co_ci_u32_e32 v45, vcc_lo, v46, v5, vcc_lo
	v_lshlrev_b64_e32 v[4:5], 2, v[42:43]
	s_delay_alu instid0(VALU_DEP_1) | instskip(SKIP_1) | instid1(VALU_DEP_2)
	v_add_co_u32 v7, vcc_lo, v8, v4
	s_wait_alu 0xfffd
	v_add_co_ci_u32_e32 v8, vcc_lo, v46, v5, vcc_lo
	v_fma_f16 v4, v25, 2.0, -v28
	v_fma_f16 v5, v9, 2.0, -v29
	;; [unrolled: 1-line block ×4, first 2 shown]
	s_delay_alu instid0(VALU_DEP_4) | instskip(NEXT) | instid1(VALU_DEP_4)
	v_sub_f16_e32 v6, v4, v6
	v_sub_f16_e32 v5, v2, v5
	s_delay_alu instid0(VALU_DEP_2) | instskip(NEXT) | instid1(VALU_DEP_2)
	v_fma_f16 v4, v4, 2.0, -v6
	v_fma_f16 v2, v2, 2.0, -v5
	s_delay_alu instid0(VALU_DEP_1) | instskip(SKIP_2) | instid1(VALU_DEP_2)
	v_pack_b32_f16 v2, v2, v4
	v_sub_f16_e32 v4, v3, v9
	v_sub_f16_e32 v9, v10, v11
	v_fma_f16 v3, v3, 2.0, -v4
	s_delay_alu instid0(VALU_DEP_2) | instskip(NEXT) | instid1(VALU_DEP_1)
	v_fma_f16 v10, v10, 2.0, -v9
	v_pack_b32_f16 v3, v3, v10
	v_sub_f16_e32 v10, v18, v20
	ds_store_2addr_b32 v96, v2, v3 offset0:32 offset1:176
	v_pack_b32_f16 v2, v5, v6
	v_pack_b32_f16 v3, v4, v9
	v_fma_f16 v4, v12, 2.0, -v33
	v_lshrrev_b32_e32 v6, 16, v1
	v_sub_f16_e32 v5, v1, v16
	v_sub_f16_e32 v9, v15, v17
	ds_store_2addr_b32 v95, v2, v3 offset0:96 offset1:240
	v_pack_b32_f16 v2, v21, v22
	v_pack_b32_f16 v3, v30, v32
	v_fma_f16 v1, v1, 2.0, -v5
	v_fma_f16 v11, v15, 2.0, -v9
	;; [unrolled: 1-line block ×3, first 2 shown]
	ds_store_2addr_b32 v123, v2, v3 offset0:64 offset1:208
	v_fma_f16 v2, v14, 2.0, -v34
	v_fma_f16 v3, v35, 2.0, -v36
	v_sub_f16_e32 v11, v1, v11
	v_lshrrev_b32_e32 v34, 16, v101
	s_delay_alu instid0(VALU_DEP_4) | instskip(NEXT) | instid1(VALU_DEP_4)
	v_sub_f16_e32 v2, v0, v2
	v_sub_f16_e32 v4, v3, v4
	s_delay_alu instid0(VALU_DEP_4) | instskip(NEXT) | instid1(VALU_DEP_3)
	v_fma_f16 v1, v1, 2.0, -v11
	v_fma_f16 v0, v0, 2.0, -v2
	s_delay_alu instid0(VALU_DEP_3) | instskip(NEXT) | instid1(VALU_DEP_1)
	v_fma_f16 v3, v3, 2.0, -v4
	v_pack_b32_f16 v0, v0, v3
	v_sub_f16_e32 v3, v6, v19
	s_delay_alu instid0(VALU_DEP_1) | instskip(NEXT) | instid1(VALU_DEP_1)
	v_fma_f16 v6, v6, 2.0, -v3
	v_sub_f16_e32 v12, v6, v12
	s_delay_alu instid0(VALU_DEP_1) | instskip(NEXT) | instid1(VALU_DEP_1)
	v_fma_f16 v6, v6, 2.0, -v12
	v_pack_b32_f16 v1, v1, v6
	ds_store_2addr_b32 v130, v0, v1 offset0:64 offset1:208
	v_pack_b32_f16 v0, v2, v4
	v_pack_b32_f16 v1, v11, v12
	v_sub_f16_e32 v2, v3, v9
	ds_store_2addr_b32 v126, v0, v1 offset1:144
	v_add_f16_e32 v1, v5, v10
	v_pack_b32_f16 v0, v23, v24
	s_delay_alu instid0(VALU_DEP_2) | instskip(SKIP_3) | instid1(VALU_DEP_1)
	v_pack_b32_f16 v4, v1, v2
	ds_store_2addr_b32 v91, v0, v4 offset0:96 offset1:240
	v_fma_f16 v0, v5, 2.0, -v1
	v_fma_f16 v1, v3, 2.0, -v2
	v_pack_b32_f16 v0, v0, v1
	ds_store_b32 v117, v0 offset:6336
	global_wb scope:SCOPE_SE
	s_wait_dscnt 0x0
	s_barrier_signal -1
	s_barrier_wait -1
	global_inv scope:SCOPE_SE
	ds_load_2addr_b32 v[1:2], v117 offset1:144
	ds_load_2addr_b32 v[9:10], v130 offset0:64 offset1:208
	s_wait_dscnt 0x1
	v_lshrrev_b32_e32 v0, 16, v1
	v_mul_f16_e32 v3, v125, v1
	s_wait_dscnt 0x0
	v_lshrrev_b32_e32 v17, 16, v9
	s_delay_alu instid0(VALU_DEP_2) | instskip(SKIP_1) | instid1(VALU_DEP_2)
	v_fma_f16 v3, v114, v0, -v3
	v_mul_f16_e32 v0, v125, v0
	v_cvt_f32_f16_e32 v3, v3
	s_delay_alu instid0(VALU_DEP_2) | instskip(NEXT) | instid1(VALU_DEP_2)
	v_fmac_f16_e32 v0, v114, v1
	v_cvt_f64_f32_e32 v[3:4], v3
	s_delay_alu instid0(VALU_DEP_2) | instskip(NEXT) | instid1(VALU_DEP_1)
	v_cvt_f32_f16_e32 v0, v0
	v_cvt_f64_f32_e32 v[0:1], v0
	s_wait_alu 0xfffe
	s_delay_alu instid0(VALU_DEP_3) | instskip(NEXT) | instid1(VALU_DEP_2)
	v_mul_f64_e32 v[4:5], s[10:11], v[3:4]
	v_mul_f64_e32 v[0:1], s[10:11], v[0:1]
	s_delay_alu instid0(VALU_DEP_2) | instskip(SKIP_3) | instid1(VALU_DEP_4)
	v_and_or_b32 v3, 0x1ff, v5, v4
	v_lshrrev_b32_e32 v4, 8, v5
	v_bfe_u32 v15, v5, 20, 11
	v_lshrrev_b32_e32 v5, 16, v5
	v_cmp_ne_u32_e32 vcc_lo, 0, v3
	v_and_or_b32 v0, 0x1ff, v1, v0
	s_wait_alu 0xfffd
	v_cndmask_b32_e64 v3, 0, 1, vcc_lo
	s_delay_alu instid0(VALU_DEP_2) | instskip(NEXT) | instid1(VALU_DEP_2)
	v_cmp_ne_u32_e64 s2, 0, v0
	v_and_or_b32 v6, 0xffe, v4, v3
	v_sub_nc_u32_e32 v3, 0x3f1, v15
	s_wait_alu 0xf1ff
	s_delay_alu instid0(VALU_DEP_3) | instskip(NEXT) | instid1(VALU_DEP_3)
	v_cndmask_b32_e64 v0, 0, 1, s2
	v_or_b32_e32 v4, 0x1000, v6
	s_delay_alu instid0(VALU_DEP_3) | instskip(NEXT) | instid1(VALU_DEP_1)
	v_med3_i32 v3, v3, 0, 13
	v_lshrrev_b32_e32 v16, v3, v4
	s_delay_alu instid0(VALU_DEP_1) | instskip(NEXT) | instid1(VALU_DEP_1)
	v_lshlrev_b32_e32 v3, v3, v16
	v_cmp_ne_u32_e64 s0, v3, v4
	v_mul_f16_e32 v3, v124, v9
	s_delay_alu instid0(VALU_DEP_1) | instskip(NEXT) | instid1(VALU_DEP_1)
	v_fma_f16 v3, v116, v17, -v3
	v_cvt_f32_f16_e32 v3, v3
	s_delay_alu instid0(VALU_DEP_1) | instskip(NEXT) | instid1(VALU_DEP_1)
	v_cvt_f64_f32_e32 v[3:4], v3
	v_mul_f64_e32 v[11:12], s[10:11], v[3:4]
	s_delay_alu instid0(VALU_DEP_1) | instskip(SKIP_2) | instid1(VALU_DEP_3)
	v_and_or_b32 v3, 0x1ff, v12, v11
	v_lshrrev_b32_e32 v4, 8, v12
	v_bfe_u32 v18, v12, 20, 11
	v_cmp_ne_u32_e32 vcc_lo, 0, v3
	s_wait_alu 0xfffd
	v_cndmask_b32_e64 v3, 0, 1, vcc_lo
	s_delay_alu instid0(VALU_DEP_1) | instskip(SKIP_1) | instid1(VALU_DEP_2)
	v_and_or_b32 v11, 0xffe, v4, v3
	v_sub_nc_u32_e32 v3, 0x3f1, v18
	v_or_b32_e32 v4, 0x1000, v11
	s_delay_alu instid0(VALU_DEP_2) | instskip(NEXT) | instid1(VALU_DEP_1)
	v_med3_i32 v3, v3, 0, 13
	v_lshrrev_b32_e32 v19, v3, v4
	s_delay_alu instid0(VALU_DEP_1) | instskip(NEXT) | instid1(VALU_DEP_1)
	v_lshlrev_b32_e32 v3, v3, v19
	v_cmp_ne_u32_e64 s1, v3, v4
	ds_load_2addr_b32 v[3:4], v128 offset1:144
	s_wait_dscnt 0x0
	v_lshrrev_b32_e32 v21, 16, v3
	v_mul_f16_e32 v13, v121, v3
	s_delay_alu instid0(VALU_DEP_1) | instskip(SKIP_1) | instid1(VALU_DEP_2)
	v_fma_f16 v13, v112, v21, -v13
	v_mul_f16_e32 v21, v121, v21
	v_cvt_f32_f16_e32 v13, v13
	s_delay_alu instid0(VALU_DEP_2) | instskip(NEXT) | instid1(VALU_DEP_2)
	v_fmac_f16_e32 v21, v112, v3
	v_cvt_f64_f32_e32 v[13:14], v13
	s_delay_alu instid0(VALU_DEP_2) | instskip(NEXT) | instid1(VALU_DEP_2)
	v_cvt_f32_f16_e32 v3, v21
	v_mul_f64_e32 v[13:14], s[10:11], v[13:14]
	s_delay_alu instid0(VALU_DEP_1) | instskip(SKIP_2) | instid1(VALU_DEP_3)
	v_and_or_b32 v13, 0x1ff, v14, v13
	v_lshrrev_b32_e32 v20, 8, v14
	v_bfe_u32 v23, v14, 20, 11
	v_cmp_ne_u32_e32 vcc_lo, 0, v13
	s_wait_alu 0xfffd
	v_cndmask_b32_e64 v13, 0, 1, vcc_lo
	s_delay_alu instid0(VALU_DEP_1) | instskip(SKIP_2) | instid1(VALU_DEP_3)
	v_and_or_b32 v13, 0xffe, v20, v13
	v_sub_nc_u32_e32 v20, 0x3f1, v23
	v_add_nc_u32_e32 v23, 0xfffffc10, v23
	v_or_b32_e32 v22, 0x1000, v13
	s_delay_alu instid0(VALU_DEP_3) | instskip(NEXT) | instid1(VALU_DEP_1)
	v_med3_i32 v20, v20, 0, 13
	v_lshrrev_b32_e32 v24, v20, v22
	s_delay_alu instid0(VALU_DEP_1) | instskip(NEXT) | instid1(VALU_DEP_1)
	v_lshlrev_b32_e32 v20, v20, v24
	v_cmp_ne_u32_e32 vcc_lo, v20, v22
	v_lshrrev_b32_e32 v20, 8, v1
	s_delay_alu instid0(VALU_DEP_1) | instskip(SKIP_2) | instid1(VALU_DEP_3)
	v_and_or_b32 v0, 0xffe, v20, v0
	v_bfe_u32 v20, v1, 20, 11
	v_lshrrev_b32_e32 v1, 16, v1
	v_or_b32_e32 v25, 0x1000, v0
	s_delay_alu instid0(VALU_DEP_3) | instskip(SKIP_1) | instid1(VALU_DEP_2)
	v_sub_nc_u32_e32 v22, 0x3f1, v20
	v_add_nc_u32_e32 v20, 0xfffffc10, v20
	v_med3_i32 v22, v22, 0, 13
	s_delay_alu instid0(VALU_DEP_1) | instskip(NEXT) | instid1(VALU_DEP_1)
	v_lshrrev_b32_e32 v26, v22, v25
	v_lshlrev_b32_e32 v22, v22, v26
	s_delay_alu instid0(VALU_DEP_1) | instskip(SKIP_2) | instid1(VALU_DEP_2)
	v_cmp_ne_u32_e64 s2, v22, v25
	v_lshl_or_b32 v25, v20, 12, v0
	s_wait_alu 0xf1ff
	v_cndmask_b32_e64 v22, 0, 1, s2
	v_cmp_gt_i32_e64 s2, 1, v20
	s_delay_alu instid0(VALU_DEP_2) | instskip(SKIP_1) | instid1(VALU_DEP_1)
	v_or_b32_e32 v22, v26, v22
	s_wait_alu 0xf1ff
	v_cndmask_b32_e64 v22, v25, v22, s2
	s_delay_alu instid0(VALU_DEP_1) | instskip(NEXT) | instid1(VALU_DEP_1)
	v_and_b32_e32 v25, 7, v22
	v_cmp_lt_i32_e64 s2, 5, v25
	v_cmp_eq_u32_e64 s3, 3, v25
	v_cndmask_b32_e64 v25, 0, 1, s0
	v_cmp_ne_u32_e64 s0, 0, v0
	v_add_nc_u32_e32 v0, 0xfffffc10, v15
	s_delay_alu instid0(VALU_DEP_4) | instskip(NEXT) | instid1(VALU_DEP_3)
	s_or_b32 s2, s3, s2
	v_or_b32_e32 v16, v16, v25
	v_cmp_ne_u32_e64 s3, 0, v6
	s_delay_alu instid0(VALU_DEP_3) | instskip(SKIP_1) | instid1(VALU_DEP_1)
	v_lshl_or_b32 v15, v0, 12, v6
	v_cmp_gt_i32_e64 s4, 1, v0
	v_cndmask_b32_e64 v15, v15, v16, s4
	v_lshrrev_b32_e32 v16, 2, v22
	v_cndmask_b32_e64 v22, 0, 1, s0
	v_cmp_eq_u32_e64 s0, 0x40f, v20
	s_delay_alu instid0(VALU_DEP_4)
	v_lshrrev_b32_e32 v6, 2, v15
	s_wait_alu 0xfffe
	v_add_co_ci_u32_e64 v16, s2, 0, v16, s2
	v_cmp_gt_i32_e64 s2, 31, v20
	v_lshl_or_b32 v22, v22, 9, 0x7c00
	v_and_b32_e32 v20, 7, v15
	s_wait_alu 0xf1ff
	v_cndmask_b32_e64 v15, 0, 1, s3
	v_cndmask_b32_e64 v16, 0x7c00, v16, s2
	s_delay_alu instid0(VALU_DEP_3) | instskip(NEXT) | instid1(VALU_DEP_3)
	v_cmp_eq_u32_e64 s2, 3, v20
	v_lshl_or_b32 v15, v15, 9, 0x7c00
	s_delay_alu instid0(VALU_DEP_3) | instskip(SKIP_1) | instid1(VALU_DEP_2)
	v_cndmask_b32_e64 v16, v16, v22, s0
	v_cmp_lt_i32_e64 s0, 5, v20
	v_and_or_b32 v1, 0x8000, v1, v16
	s_delay_alu instid0(VALU_DEP_2)
	s_or_b32 s0, s2, s0
	s_wait_alu 0xfffe
	v_add_co_ci_u32_e64 v6, s0, 0, v6, s0
	v_cmp_gt_i32_e64 s0, 31, v0
	v_and_b32_e32 v1, 0xffff, v1
	s_wait_alu 0xf1ff
	s_delay_alu instid0(VALU_DEP_2) | instskip(SKIP_2) | instid1(VALU_DEP_1)
	v_cndmask_b32_e64 v6, 0x7c00, v6, s0
	v_cmp_eq_u32_e64 s0, 0x40f, v0
	s_wait_alu 0xf1ff
	v_cndmask_b32_e64 v0, v6, v15, s0
	s_delay_alu instid0(VALU_DEP_1) | instskip(SKIP_1) | instid1(VALU_DEP_2)
	v_and_or_b32 v0, 0x8000, v5, v0
	v_mul_f16_e32 v5, v124, v17
	v_lshl_or_b32 v0, v0, 16, v1
	s_delay_alu instid0(VALU_DEP_2)
	v_fmac_f16_e32 v5, v116, v9
	global_store_b32 v[44:45], v0, off
	v_cvt_f32_f16_e32 v5, v5
	v_add_co_u32 v0, s0, v44, s6
	s_wait_alu 0xf1ff
	v_add_co_ci_u32_e64 v1, s0, s7, v45, s0
	s_delay_alu instid0(VALU_DEP_3) | instskip(NEXT) | instid1(VALU_DEP_1)
	v_cvt_f64_f32_e32 v[5:6], v5
	v_mul_f64_e32 v[5:6], s[10:11], v[5:6]
	s_delay_alu instid0(VALU_DEP_1) | instskip(SKIP_1) | instid1(VALU_DEP_2)
	v_and_or_b32 v5, 0x1ff, v6, v5
	v_lshrrev_b32_e32 v9, 8, v6
	v_cmp_ne_u32_e64 s0, 0, v5
	s_wait_alu 0xf1ff
	s_delay_alu instid0(VALU_DEP_1) | instskip(NEXT) | instid1(VALU_DEP_1)
	v_cndmask_b32_e64 v5, 0, 1, s0
	v_and_or_b32 v5, 0xffe, v9, v5
	v_bfe_u32 v9, v6, 20, 11
	v_lshrrev_b32_e32 v6, 16, v6
	s_delay_alu instid0(VALU_DEP_3) | instskip(NEXT) | instid1(VALU_DEP_3)
	v_or_b32_e32 v16, 0x1000, v5
	v_sub_nc_u32_e32 v15, 0x3f1, v9
	v_add_nc_u32_e32 v9, 0xfffffc10, v9
	s_delay_alu instid0(VALU_DEP_2) | instskip(NEXT) | instid1(VALU_DEP_1)
	v_med3_i32 v15, v15, 0, 13
	v_lshrrev_b32_e32 v17, v15, v16
	s_delay_alu instid0(VALU_DEP_1) | instskip(NEXT) | instid1(VALU_DEP_1)
	v_lshlrev_b32_e32 v15, v15, v17
	v_cmp_ne_u32_e64 s0, v15, v16
	v_lshl_or_b32 v16, v9, 12, v5
	s_wait_alu 0xf1ff
	s_delay_alu instid0(VALU_DEP_2) | instskip(SKIP_1) | instid1(VALU_DEP_2)
	v_cndmask_b32_e64 v15, 0, 1, s0
	v_cmp_gt_i32_e64 s0, 1, v9
	v_or_b32_e32 v15, v17, v15
	s_wait_alu 0xf1ff
	s_delay_alu instid0(VALU_DEP_1) | instskip(NEXT) | instid1(VALU_DEP_1)
	v_cndmask_b32_e64 v15, v16, v15, s0
	v_and_b32_e32 v16, 7, v15
	v_lshrrev_b32_e32 v15, 2, v15
	s_delay_alu instid0(VALU_DEP_2) | instskip(SKIP_4) | instid1(VALU_DEP_4)
	v_cmp_lt_i32_e64 s0, 5, v16
	v_cmp_eq_u32_e64 s2, 3, v16
	v_cndmask_b32_e64 v16, 0, 1, s1
	v_cmp_ne_u32_e64 s1, 0, v5
	v_add_nc_u32_e32 v5, 0xfffffc10, v18
	s_or_b32 s0, s2, s0
	s_delay_alu instid0(VALU_DEP_3)
	v_or_b32_e32 v16, v19, v16
	s_wait_alu 0xfffe
	v_add_co_ci_u32_e64 v15, s0, 0, v15, s0
	v_lshl_or_b32 v17, v5, 12, v11
	v_cmp_gt_i32_e64 s3, 1, v5
	v_cmp_gt_i32_e64 s0, 31, v9
	v_cmp_ne_u32_e64 s2, 0, v11
	s_wait_alu 0xf1ff
	s_delay_alu instid0(VALU_DEP_3) | instskip(SKIP_3) | instid1(VALU_DEP_4)
	v_cndmask_b32_e64 v16, v17, v16, s3
	v_cndmask_b32_e64 v17, 0, 1, s1
	;; [unrolled: 1-line block ×3, first 2 shown]
	v_cmp_eq_u32_e64 s0, 0x40f, v9
	v_lshrrev_b32_e32 v11, 2, v16
	s_delay_alu instid0(VALU_DEP_4) | instskip(SKIP_1) | instid1(VALU_DEP_1)
	v_lshl_or_b32 v17, v17, 9, 0x7c00
	s_wait_alu 0xf1ff
	v_cndmask_b32_e64 v9, v15, v17, s0
	v_and_b32_e32 v15, 7, v16
	s_delay_alu instid0(VALU_DEP_2) | instskip(NEXT) | instid1(VALU_DEP_2)
	v_and_or_b32 v6, 0x8000, v6, v9
	v_cmp_lt_i32_e64 s0, 5, v15
	v_cmp_eq_u32_e64 s1, 3, v15
	v_cndmask_b32_e64 v15, 0, 1, s2
	s_delay_alu instid0(VALU_DEP_4) | instskip(NEXT) | instid1(VALU_DEP_3)
	v_and_b32_e32 v6, 0xffff, v6
	s_or_b32 s0, s1, s0
	s_delay_alu instid0(VALU_DEP_2) | instskip(SKIP_4) | instid1(VALU_DEP_1)
	v_lshl_or_b32 v15, v15, 9, 0x7c00
	s_wait_alu 0xfffe
	v_add_co_ci_u32_e64 v11, s0, 0, v11, s0
	v_cmp_gt_i32_e64 s0, 31, v5
	s_wait_alu 0xf1ff
	v_cndmask_b32_e64 v11, 0x7c00, v11, s0
	v_cmp_eq_u32_e64 s0, 0x40f, v5
	s_wait_alu 0xf1ff
	s_delay_alu instid0(VALU_DEP_1) | instskip(SKIP_1) | instid1(VALU_DEP_1)
	v_cndmask_b32_e64 v5, v11, v15, s0
	v_lshrrev_b32_e32 v11, 16, v12
	v_and_or_b32 v5, 0x8000, v11, v5
	v_add_co_u32 v11, s0, v0, s6
	s_wait_alu 0xf1ff
	v_add_co_ci_u32_e64 v12, s0, s7, v1, s0
	s_delay_alu instid0(VALU_DEP_3)
	v_lshl_or_b32 v5, v5, 16, v6
	global_store_b32 v[0:1], v5, off
	ds_load_2addr_b32 v[5:6], v127 offset0:64 offset1:208
	s_wait_dscnt 0x0
	v_lshrrev_b32_e32 v9, 16, v5
	v_mul_f16_e32 v0, v120, v5
	s_delay_alu instid0(VALU_DEP_1) | instskip(NEXT) | instid1(VALU_DEP_1)
	v_fma_f16 v0, v119, v9, -v0
	v_cvt_f32_f16_e32 v0, v0
	s_delay_alu instid0(VALU_DEP_1) | instskip(NEXT) | instid1(VALU_DEP_1)
	v_cvt_f64_f32_e32 v[0:1], v0
	v_mul_f64_e32 v[15:16], s[10:11], v[0:1]
	s_delay_alu instid0(VALU_DEP_1) | instskip(SKIP_2) | instid1(VALU_DEP_3)
	v_and_or_b32 v0, 0x1ff, v16, v15
	v_lshrrev_b32_e32 v1, 8, v16
	v_bfe_u32 v25, v16, 20, 11
	v_cmp_ne_u32_e64 s0, 0, v0
	s_wait_alu 0xf1ff
	s_delay_alu instid0(VALU_DEP_1) | instskip(NEXT) | instid1(VALU_DEP_1)
	v_cndmask_b32_e64 v0, 0, 1, s0
	v_and_or_b32 v15, 0xffe, v1, v0
	v_sub_nc_u32_e32 v0, 0x3f1, v25
	s_delay_alu instid0(VALU_DEP_2) | instskip(NEXT) | instid1(VALU_DEP_2)
	v_or_b32_e32 v1, 0x1000, v15
	v_med3_i32 v0, v0, 0, 13
	s_delay_alu instid0(VALU_DEP_1) | instskip(NEXT) | instid1(VALU_DEP_1)
	v_lshrrev_b32_e32 v26, v0, v1
	v_lshlrev_b32_e32 v0, v0, v26
	s_delay_alu instid0(VALU_DEP_1) | instskip(SKIP_4) | instid1(VALU_DEP_2)
	v_cmp_ne_u32_e64 s0, v0, v1
	ds_load_2addr_b32 v[0:1], v126 offset1:144
	s_wait_dscnt 0x0
	v_lshrrev_b32_e32 v17, 16, v0
	v_mul_f16_e32 v18, v122, v0
	v_mul_f16_e32 v19, v122, v17
	s_delay_alu instid0(VALU_DEP_2) | instskip(NEXT) | instid1(VALU_DEP_2)
	v_fma_f16 v20, v111, v17, -v18
	v_fmac_f16_e32 v19, v111, v0
	s_delay_alu instid0(VALU_DEP_1) | instskip(NEXT) | instid1(VALU_DEP_1)
	v_cvt_f32_f16_e32 v0, v19
	v_cvt_f64_f32_e32 v[17:18], v0
	s_delay_alu instid0(VALU_DEP_1) | instskip(NEXT) | instid1(VALU_DEP_1)
	v_mul_f64_e32 v[17:18], s[10:11], v[17:18]
	v_and_or_b32 v0, 0x1ff, v18, v17
	v_lshrrev_b32_e32 v17, 8, v18
	s_delay_alu instid0(VALU_DEP_2) | instskip(SKIP_1) | instid1(VALU_DEP_1)
	v_cmp_ne_u32_e64 s1, 0, v0
	s_wait_alu 0xf1ff
	v_cndmask_b32_e64 v0, 0, 1, s1
	s_delay_alu instid0(VALU_DEP_1) | instskip(SKIP_1) | instid1(VALU_DEP_2)
	v_and_or_b32 v0, 0xffe, v17, v0
	v_bfe_u32 v17, v18, 20, 11
	v_or_b32_e32 v22, 0x1000, v0
	s_delay_alu instid0(VALU_DEP_2) | instskip(NEXT) | instid1(VALU_DEP_1)
	v_sub_nc_u32_e32 v19, 0x3f1, v17
	v_med3_i32 v19, v19, 0, 13
	s_delay_alu instid0(VALU_DEP_1) | instskip(NEXT) | instid1(VALU_DEP_1)
	v_lshrrev_b32_e32 v27, v19, v22
	v_lshlrev_b32_e32 v19, v19, v27
	s_delay_alu instid0(VALU_DEP_1) | instskip(SKIP_1) | instid1(VALU_DEP_1)
	v_cmp_ne_u32_e64 s1, v19, v22
	v_cvt_f32_f16_e32 v19, v20
	v_cvt_f64_f32_e32 v[19:20], v19
	s_delay_alu instid0(VALU_DEP_1) | instskip(NEXT) | instid1(VALU_DEP_1)
	v_mul_f64_e32 v[19:20], s[10:11], v[19:20]
	v_and_or_b32 v19, 0x1ff, v20, v19
	v_lshrrev_b32_e32 v22, 8, v20
	v_bfe_u32 v28, v20, 20, 11
	s_delay_alu instid0(VALU_DEP_3) | instskip(SKIP_1) | instid1(VALU_DEP_1)
	v_cmp_ne_u32_e64 s2, 0, v19
	s_wait_alu 0xf1ff
	v_cndmask_b32_e64 v19, 0, 1, s2
	s_delay_alu instid0(VALU_DEP_1) | instskip(SKIP_1) | instid1(VALU_DEP_2)
	v_and_or_b32 v19, 0xffe, v22, v19
	v_sub_nc_u32_e32 v22, 0x3f1, v28
	v_or_b32_e32 v29, 0x1000, v19
	s_delay_alu instid0(VALU_DEP_2) | instskip(NEXT) | instid1(VALU_DEP_1)
	v_med3_i32 v22, v22, 0, 13
	v_lshrrev_b32_e32 v30, v22, v29
	s_delay_alu instid0(VALU_DEP_1) | instskip(NEXT) | instid1(VALU_DEP_1)
	v_lshlrev_b32_e32 v22, v22, v30
	v_cmp_ne_u32_e64 s2, v22, v29
	v_cvt_f64_f32_e32 v[21:22], v3
	s_delay_alu instid0(VALU_DEP_1) | instskip(NEXT) | instid1(VALU_DEP_1)
	v_mul_f64_e32 v[21:22], s[10:11], v[21:22]
	v_and_or_b32 v3, 0x1ff, v22, v21
	v_lshrrev_b32_e32 v21, 8, v22
	s_delay_alu instid0(VALU_DEP_2) | instskip(SKIP_1) | instid1(VALU_DEP_1)
	v_cmp_ne_u32_e64 s3, 0, v3
	s_wait_alu 0xf1ff
	v_cndmask_b32_e64 v3, 0, 1, s3
	s_delay_alu instid0(VALU_DEP_1) | instskip(SKIP_2) | instid1(VALU_DEP_3)
	v_and_or_b32 v3, 0xffe, v21, v3
	v_bfe_u32 v21, v22, 20, 11
	v_lshrrev_b32_e32 v22, 16, v22
	v_or_b32_e32 v31, 0x1000, v3
	s_delay_alu instid0(VALU_DEP_3) | instskip(SKIP_2) | instid1(VALU_DEP_3)
	v_sub_nc_u32_e32 v29, 0x3f1, v21
	v_add_nc_u32_e32 v21, 0xfffffc10, v21
	v_cmp_ne_u32_e64 s5, 0, v3
	v_med3_i32 v29, v29, 0, 13
	s_delay_alu instid0(VALU_DEP_1) | instskip(NEXT) | instid1(VALU_DEP_1)
	v_lshrrev_b32_e32 v32, v29, v31
	v_lshlrev_b32_e32 v29, v29, v32
	s_delay_alu instid0(VALU_DEP_1)
	v_cmp_ne_u32_e64 s3, v29, v31
	v_lshl_or_b32 v31, v21, 12, v3
	s_wait_alu 0xfffd
	v_cndmask_b32_e64 v3, 0, 1, vcc_lo
	v_cmp_gt_i32_e32 vcc_lo, 1, v23
	s_wait_alu 0xf1ff
	v_cndmask_b32_e64 v29, 0, 1, s3
	v_cmp_gt_i32_e64 s3, 1, v21
	v_or_b32_e32 v3, v24, v3
	v_lshl_or_b32 v24, v23, 12, v13
	s_delay_alu instid0(VALU_DEP_4) | instskip(SKIP_1) | instid1(VALU_DEP_2)
	v_or_b32_e32 v29, v32, v29
	s_wait_alu 0xfffd
	v_cndmask_b32_e32 v3, v24, v3, vcc_lo
	s_wait_alu 0xf1ff
	s_delay_alu instid0(VALU_DEP_2) | instskip(NEXT) | instid1(VALU_DEP_1)
	v_cndmask_b32_e64 v29, v31, v29, s3
	v_and_b32_e32 v31, 7, v29
	v_lshrrev_b32_e32 v24, 2, v29
	v_cndmask_b32_e64 v29, 0, 1, s5
	s_delay_alu instid0(VALU_DEP_3) | instskip(SKIP_1) | instid1(VALU_DEP_3)
	v_cmp_lt_i32_e64 s3, 5, v31
	v_cmp_eq_u32_e64 s4, 3, v31
	v_lshl_or_b32 v29, v29, 9, 0x7c00
	s_delay_alu instid0(VALU_DEP_2)
	s_or_b32 vcc_lo, s4, s3
	v_cmp_ne_u32_e64 s4, 0, v13
	s_wait_alu 0xfffe
	v_add_co_ci_u32_e32 v24, vcc_lo, 0, v24, vcc_lo
	v_cmp_gt_i32_e32 vcc_lo, 31, v21
	s_wait_alu 0xf1ff
	v_cndmask_b32_e64 v13, 0, 1, s4
	s_wait_alu 0xfffd
	v_cndmask_b32_e32 v24, 0x7c00, v24, vcc_lo
	v_cmp_eq_u32_e32 vcc_lo, 0x40f, v21
	s_delay_alu instid0(VALU_DEP_3) | instskip(SKIP_1) | instid1(VALU_DEP_3)
	v_lshl_or_b32 v13, v13, 9, 0x7c00
	s_wait_alu 0xfffd
	v_dual_cndmask_b32 v21, v24, v29 :: v_dual_and_b32 v24, 7, v3
	v_lshrrev_b32_e32 v3, 2, v3
	s_delay_alu instid0(VALU_DEP_2) | instskip(SKIP_1) | instid1(VALU_DEP_1)
	v_cmp_lt_i32_e32 vcc_lo, 5, v24
	v_cmp_eq_u32_e64 s3, 3, v24
	s_or_b32 vcc_lo, s3, vcc_lo
	s_wait_alu 0xfffe
	v_add_co_ci_u32_e32 v3, vcc_lo, 0, v3, vcc_lo
	v_cmp_gt_i32_e32 vcc_lo, 31, v23
	s_wait_alu 0xfffd
	s_delay_alu instid0(VALU_DEP_2) | instskip(SKIP_2) | instid1(VALU_DEP_2)
	v_cndmask_b32_e32 v3, 0x7c00, v3, vcc_lo
	v_cmp_eq_u32_e32 vcc_lo, 0x40f, v23
	s_wait_alu 0xfffd
	v_cndmask_b32_e32 v3, v3, v13, vcc_lo
	v_lshrrev_b32_e32 v13, 16, v14
	v_and_or_b32 v14, 0x8000, v22, v21
	v_add_co_u32 v21, vcc_lo, v11, s6
	s_wait_alu 0xfffd
	v_add_co_ci_u32_e32 v22, vcc_lo, s7, v12, vcc_lo
	v_and_or_b32 v3, 0x8000, v13, v3
	v_and_b32_e32 v13, 0xffff, v14
	s_delay_alu instid0(VALU_DEP_1) | instskip(SKIP_2) | instid1(VALU_DEP_1)
	v_lshl_or_b32 v3, v3, 16, v13
	global_store_b32 v[11:12], v3, off
	v_mul_f16_e32 v3, v120, v9
	v_fmac_f16_e32 v3, v119, v5
	s_delay_alu instid0(VALU_DEP_1) | instskip(NEXT) | instid1(VALU_DEP_1)
	v_cvt_f32_f16_e32 v3, v3
	v_cvt_f64_f32_e32 v[11:12], v3
	s_delay_alu instid0(VALU_DEP_1) | instskip(NEXT) | instid1(VALU_DEP_1)
	v_mul_f64_e32 v[11:12], s[10:11], v[11:12]
	v_and_or_b32 v3, 0x1ff, v12, v11
	v_lshrrev_b32_e32 v5, 8, v12
	s_delay_alu instid0(VALU_DEP_2) | instskip(SKIP_2) | instid1(VALU_DEP_1)
	v_cmp_ne_u32_e32 vcc_lo, 0, v3
	s_wait_alu 0xfffd
	v_cndmask_b32_e64 v3, 0, 1, vcc_lo
	v_and_or_b32 v3, 0xffe, v5, v3
	v_bfe_u32 v5, v12, 20, 11
	s_delay_alu instid0(VALU_DEP_2) | instskip(NEXT) | instid1(VALU_DEP_2)
	v_or_b32_e32 v11, 0x1000, v3
	v_sub_nc_u32_e32 v9, 0x3f1, v5
	v_add_nc_u32_e32 v5, 0xfffffc10, v5
	v_cmp_ne_u32_e64 s3, 0, v3
	s_delay_alu instid0(VALU_DEP_3) | instskip(NEXT) | instid1(VALU_DEP_1)
	v_med3_i32 v9, v9, 0, 13
	v_lshrrev_b32_e32 v13, v9, v11
	s_delay_alu instid0(VALU_DEP_1) | instskip(NEXT) | instid1(VALU_DEP_1)
	v_lshlrev_b32_e32 v9, v9, v13
	v_cmp_ne_u32_e32 vcc_lo, v9, v11
	v_lshl_or_b32 v11, v5, 12, v3
	s_wait_alu 0xfffd
	v_cndmask_b32_e64 v9, 0, 1, vcc_lo
	v_cmp_gt_i32_e32 vcc_lo, 1, v5
	s_delay_alu instid0(VALU_DEP_2) | instskip(SKIP_2) | instid1(VALU_DEP_2)
	v_or_b32_e32 v9, v13, v9
	v_add_nc_u32_e32 v13, 0xfffffc10, v25
	s_wait_alu 0xfffd
	v_cndmask_b32_e32 v9, v11, v9, vcc_lo
	v_cndmask_b32_e64 v11, 0, 1, s0
	s_delay_alu instid0(VALU_DEP_3) | instskip(SKIP_1) | instid1(VALU_DEP_3)
	v_lshl_or_b32 v14, v13, 12, v15
	v_cmp_gt_i32_e32 vcc_lo, 1, v13
	v_or_b32_e32 v11, v26, v11
	s_wait_alu 0xfffd
	s_delay_alu instid0(VALU_DEP_1) | instskip(NEXT) | instid1(VALU_DEP_1)
	v_dual_cndmask_b32 v11, v14, v11 :: v_dual_and_b32 v14, 7, v9
	v_and_b32_e32 v3, 7, v11
	s_delay_alu instid0(VALU_DEP_2) | instskip(SKIP_2) | instid1(VALU_DEP_4)
	v_cmp_lt_i32_e32 vcc_lo, 5, v14
	v_cmp_eq_u32_e64 s0, 3, v14
	v_lshrrev_b32_e32 v11, 2, v11
	v_cmp_lt_i32_e64 s4, 5, v3
	v_cmp_eq_u32_e64 s5, 3, v3
	v_lshrrev_b32_e32 v3, 2, v9
	s_or_b32 vcc_lo, s0, vcc_lo
	v_cndmask_b32_e64 v9, 0, 1, s3
	s_delay_alu instid0(VALU_DEP_3)
	s_or_b32 s0, s5, s4
	s_wait_alu 0xfffe
	v_add_co_ci_u32_e32 v3, vcc_lo, 0, v3, vcc_lo
	v_cmp_gt_i32_e32 vcc_lo, 31, v5
	v_lshl_or_b32 v9, v9, 9, 0x7c00
	v_add_co_ci_u32_e64 v11, s0, 0, v11, s0
	v_cmp_gt_i32_e64 s0, 31, v13
	s_wait_alu 0xfffd
	v_cndmask_b32_e32 v3, 0x7c00, v3, vcc_lo
	v_cmp_eq_u32_e32 vcc_lo, 0x40f, v5
	v_lshrrev_b32_e32 v5, 16, v12
	s_wait_alu 0xf1ff
	v_cndmask_b32_e64 v11, 0x7c00, v11, s0
	s_wait_alu 0xfffd
	v_cndmask_b32_e32 v3, v3, v9, vcc_lo
	v_cmp_ne_u32_e32 vcc_lo, 0, v15
	v_cndmask_b32_e64 v9, 0, 1, s1
	v_cmp_ne_u32_e64 s1, 0, v0
	s_delay_alu instid0(VALU_DEP_4)
	v_and_or_b32 v3, 0x8000, v5, v3
	s_wait_alu 0xfffd
	v_cndmask_b32_e64 v12, 0, 1, vcc_lo
	v_cmp_eq_u32_e32 vcc_lo, 0x40f, v13
	v_add_nc_u32_e32 v13, 0xfffffc10, v17
	v_or_b32_e32 v9, v27, v9
	v_and_b32_e32 v3, 0xffff, v3
	v_lshl_or_b32 v12, v12, 9, 0x7c00
	s_delay_alu instid0(VALU_DEP_4)
	v_lshl_or_b32 v14, v13, 12, v0
	v_add_nc_u32_e32 v0, 0xfffffc10, v28
	v_lshrrev_b32_e32 v28, 16, v83
	s_wait_alu 0xfffd
	v_cndmask_b32_e32 v11, v11, v12, vcc_lo
	v_cmp_gt_i32_e32 vcc_lo, 1, v13
	v_lshrrev_b32_e32 v12, 16, v16
	s_wait_alu 0xfffd
	v_cndmask_b32_e32 v9, v14, v9, vcc_lo
	s_delay_alu instid0(VALU_DEP_2) | instskip(SKIP_1) | instid1(VALU_DEP_3)
	v_and_or_b32 v5, 0x8000, v12, v11
	v_lshl_or_b32 v12, v0, 12, v19
	v_and_b32_e32 v11, 7, v9
	v_lshrrev_b32_e32 v9, 2, v9
	s_delay_alu instid0(VALU_DEP_4) | instskip(NEXT) | instid1(VALU_DEP_3)
	v_lshl_or_b32 v3, v5, 16, v3
	v_cmp_lt_i32_e32 vcc_lo, 5, v11
	v_cmp_eq_u32_e64 s0, 3, v11
	v_cndmask_b32_e64 v11, 0, 1, s2
	v_cmp_gt_i32_e64 s2, 1, v0
	s_delay_alu instid0(VALU_DEP_3) | instskip(NEXT) | instid1(VALU_DEP_2)
	s_or_b32 vcc_lo, s0, vcc_lo
	v_or_b32_e32 v11, v30, v11
	s_wait_alu 0xfffe
	v_add_co_ci_u32_e32 v9, vcc_lo, 0, v9, vcc_lo
	v_cmp_gt_i32_e32 vcc_lo, 31, v13
	s_delay_alu instid0(VALU_DEP_3)
	v_cndmask_b32_e64 v11, v12, v11, s2
	v_cndmask_b32_e64 v12, 0, 1, s1
	v_cmp_ne_u32_e64 s1, 0, v19
	s_wait_alu 0xfffd
	v_cndmask_b32_e32 v9, 0x7c00, v9, vcc_lo
	v_cmp_eq_u32_e32 vcc_lo, 0x40f, v13
	v_and_b32_e32 v13, 7, v11
	v_lshl_or_b32 v12, v12, 9, 0x7c00
	v_lshrrev_b32_e32 v11, 2, v11
	s_delay_alu instid0(VALU_DEP_3) | instskip(SKIP_1) | instid1(VALU_DEP_3)
	v_cmp_eq_u32_e64 s0, 3, v13
	s_wait_alu 0xfffd
	v_cndmask_b32_e32 v9, v9, v12, vcc_lo
	v_cmp_lt_i32_e32 vcc_lo, 5, v13
	s_wait_alu 0xf1ff
	v_cndmask_b32_e64 v13, 0, 1, s1
	v_lshrrev_b32_e32 v12, 16, v18
	s_or_b32 vcc_lo, s0, vcc_lo
	s_delay_alu instid0(VALU_DEP_2)
	v_lshl_or_b32 v13, v13, 9, 0x7c00
	s_wait_alu 0xfffe
	v_add_co_ci_u32_e32 v11, vcc_lo, 0, v11, vcc_lo
	v_cmp_gt_i32_e32 vcc_lo, 31, v0
	v_and_or_b32 v9, 0x8000, v12, v9
	s_wait_alu 0xfffd
	s_delay_alu instid0(VALU_DEP_3) | instskip(SKIP_1) | instid1(VALU_DEP_3)
	v_cndmask_b32_e32 v11, 0x7c00, v11, vcc_lo
	v_cmp_eq_u32_e32 vcc_lo, 0x40f, v0
	v_and_b32_e32 v5, 0xffff, v9
	s_wait_alu 0xfffd
	s_delay_alu instid0(VALU_DEP_3) | instskip(SKIP_1) | instid1(VALU_DEP_1)
	v_cndmask_b32_e32 v0, v11, v13, vcc_lo
	v_lshrrev_b32_e32 v11, 16, v20
	v_and_or_b32 v0, 0x8000, v11, v0
	s_delay_alu instid0(VALU_DEP_1)
	v_lshl_or_b32 v0, v0, 16, v5
	s_clause 0x1
	global_store_b32 v[21:22], v3, off
	global_store_b32 v[7:8], v0, off
	v_lshrrev_b32_e32 v0, 16, v2
	v_mul_f16_e32 v3, v115, v2
	s_delay_alu instid0(VALU_DEP_2) | instskip(NEXT) | instid1(VALU_DEP_2)
	v_mul_f16_e32 v12, v115, v0
	v_fma_f16 v5, v108, v0, -v3
	s_delay_alu instid0(VALU_DEP_2)
	v_fmac_f16_e32 v12, v108, v2
	ds_load_2addr_b32 v[2:3], v123 offset0:64 offset1:208
	v_cvt_f32_f16_e32 v5, v5
	v_cvt_f32_f16_e32 v12, v12
	s_wait_dscnt 0x0
	v_lshrrev_b32_e32 v20, 16, v2
	v_mul_f16_e32 v0, v106, v2
	s_delay_alu instid0(VALU_DEP_1) | instskip(NEXT) | instid1(VALU_DEP_1)
	v_fma_f16 v0, v105, v20, -v0
	v_cvt_f32_f16_e32 v0, v0
	s_delay_alu instid0(VALU_DEP_1) | instskip(NEXT) | instid1(VALU_DEP_1)
	v_cvt_f64_f32_e32 v[7:8], v0
	v_mul_f64_e32 v[18:19], s[10:11], v[7:8]
	v_mul_f16_e32 v8, v113, v10
	s_delay_alu instid0(VALU_DEP_2) | instskip(SKIP_3) | instid1(VALU_DEP_4)
	v_and_or_b32 v0, 0x1ff, v19, v18
	v_lshrrev_b32_e32 v7, 8, v19
	v_bfe_u32 v24, v19, 20, 11
	v_lshrrev_b32_e32 v19, 16, v19
	v_cmp_ne_u32_e32 vcc_lo, 0, v0
	s_wait_alu 0xfffd
	v_cndmask_b32_e64 v0, 0, 1, vcc_lo
	s_delay_alu instid0(VALU_DEP_1) | instskip(SKIP_1) | instid1(VALU_DEP_2)
	v_and_or_b32 v23, 0xffe, v7, v0
	v_sub_nc_u32_e32 v0, 0x3f1, v24
	v_or_b32_e32 v7, 0x1000, v23
	s_delay_alu instid0(VALU_DEP_2) | instskip(NEXT) | instid1(VALU_DEP_1)
	v_med3_i32 v0, v0, 0, 13
	v_lshrrev_b32_e32 v25, v0, v7
	s_delay_alu instid0(VALU_DEP_1) | instskip(NEXT) | instid1(VALU_DEP_1)
	v_lshlrev_b32_e32 v0, v0, v25
	v_cmp_ne_u32_e32 vcc_lo, v0, v7
	v_lshrrev_b32_e32 v7, 16, v10
	s_delay_alu instid0(VALU_DEP_1) | instskip(SKIP_2) | instid1(VALU_DEP_3)
	v_mul_f16_e32 v0, v113, v7
	v_fma_f16 v16, v109, v7, -v8
	v_cvt_f64_f32_e32 v[7:8], v5
	v_fmac_f16_e32 v0, v109, v10
	s_delay_alu instid0(VALU_DEP_1) | instskip(NEXT) | instid1(VALU_DEP_3)
	v_cvt_f32_f16_e32 v0, v0
	v_mul_f64_e32 v[7:8], s[10:11], v[7:8]
	s_delay_alu instid0(VALU_DEP_1) | instskip(SKIP_3) | instid1(VALU_DEP_4)
	v_and_or_b32 v5, 0x1ff, v8, v7
	v_lshrrev_b32_e32 v7, 8, v8
	v_bfe_u32 v14, v8, 20, 11
	v_lshrrev_b32_e32 v8, 16, v8
	v_cmp_ne_u32_e64 s0, 0, v5
	s_wait_alu 0xf1ff
	s_delay_alu instid0(VALU_DEP_1) | instskip(NEXT) | instid1(VALU_DEP_1)
	v_cndmask_b32_e64 v5, 0, 1, s0
	v_and_or_b32 v13, 0xffe, v7, v5
	v_sub_nc_u32_e32 v5, 0x3f1, v14
	v_add_nc_u32_e32 v14, 0xfffffc10, v14
	s_delay_alu instid0(VALU_DEP_3) | instskip(NEXT) | instid1(VALU_DEP_3)
	v_or_b32_e32 v7, 0x1000, v13
	v_med3_i32 v5, v5, 0, 13
	s_delay_alu instid0(VALU_DEP_1) | instskip(NEXT) | instid1(VALU_DEP_1)
	v_lshrrev_b32_e32 v15, v5, v7
	v_lshlrev_b32_e32 v5, v5, v15
	s_delay_alu instid0(VALU_DEP_1) | instskip(SKIP_2) | instid1(VALU_DEP_2)
	v_cmp_ne_u32_e64 s0, v5, v7
	v_lshrrev_b32_e32 v5, 16, v4
	v_mul_f16_e32 v7, v110, v4
	v_mul_f16_e32 v11, v110, v5
	s_delay_alu instid0(VALU_DEP_2) | instskip(SKIP_1) | instid1(VALU_DEP_3)
	v_fma_f16 v26, v103, v5, -v7
	v_cvt_f32_f16_e32 v7, v16
	v_fmac_f16_e32 v11, v103, v4
	v_mad_co_u64_u32 v[4:5], null, 0x1200, s8, v[21:22]
	v_mul_f16_e32 v21, v107, v6
	s_delay_alu instid0(VALU_DEP_2) | instskip(SKIP_1) | instid1(VALU_DEP_1)
	v_mad_co_u64_u32 v[9:10], null, 0x1200, s9, v[5:6]
	s_mul_u64 s[8:9], s[8:9], s[12:13]
	v_mov_b32_e32 v5, v9
	v_cvt_f64_f32_e32 v[9:10], v7
	s_delay_alu instid0(VALU_DEP_1) | instskip(NEXT) | instid1(VALU_DEP_1)
	v_mul_f64_e32 v[9:10], s[10:11], v[9:10]
	v_and_or_b32 v7, 0x1ff, v10, v9
	v_lshrrev_b32_e32 v9, 8, v10
	v_bfe_u32 v17, v10, 20, 11
	v_lshrrev_b32_e32 v10, 16, v10
	s_delay_alu instid0(VALU_DEP_4) | instskip(SKIP_1) | instid1(VALU_DEP_1)
	v_cmp_ne_u32_e64 s1, 0, v7
	s_wait_alu 0xf1ff
	v_cndmask_b32_e64 v7, 0, 1, s1
	s_delay_alu instid0(VALU_DEP_1) | instskip(SKIP_2) | instid1(VALU_DEP_3)
	v_and_or_b32 v16, 0xffe, v9, v7
	v_sub_nc_u32_e32 v7, 0x3f1, v17
	v_add_nc_u32_e32 v17, 0xfffffc10, v17
	v_or_b32_e32 v9, 0x1000, v16
	s_delay_alu instid0(VALU_DEP_3) | instskip(NEXT) | instid1(VALU_DEP_1)
	v_med3_i32 v7, v7, 0, 13
	v_lshrrev_b32_e32 v18, v7, v9
	s_delay_alu instid0(VALU_DEP_1) | instskip(NEXT) | instid1(VALU_DEP_1)
	v_lshlrev_b32_e32 v7, v7, v18
	v_cmp_ne_u32_e64 s1, v7, v9
	v_lshrrev_b32_e32 v9, 16, v6
	s_delay_alu instid0(VALU_DEP_1) | instskip(SKIP_1) | instid1(VALU_DEP_2)
	v_mul_f16_e32 v7, v107, v9
	v_fma_f16 v27, v104, v9, -v21
	v_fmac_f16_e32 v7, v104, v6
	v_mul_f16_e32 v6, v106, v20
	s_delay_alu instid0(VALU_DEP_1) | instskip(NEXT) | instid1(VALU_DEP_1)
	v_fmac_f16_e32 v6, v105, v2
	v_cvt_f32_f16_e32 v2, v6
	s_delay_alu instid0(VALU_DEP_1) | instskip(NEXT) | instid1(VALU_DEP_1)
	v_cvt_f64_f32_e32 v[20:21], v2
	v_mul_f64_e32 v[20:21], s[10:11], v[20:21]
	s_delay_alu instid0(VALU_DEP_1) | instskip(SKIP_1) | instid1(VALU_DEP_2)
	v_and_or_b32 v2, 0x1ff, v21, v20
	v_lshrrev_b32_e32 v6, 8, v21
	v_cmp_ne_u32_e64 s2, 0, v2
	s_wait_alu 0xf1ff
	s_delay_alu instid0(VALU_DEP_1) | instskip(NEXT) | instid1(VALU_DEP_1)
	v_cndmask_b32_e64 v2, 0, 1, s2
	v_and_or_b32 v2, 0xffe, v6, v2
	v_bfe_u32 v6, v21, 20, 11
	s_delay_alu instid0(VALU_DEP_2) | instskip(NEXT) | instid1(VALU_DEP_2)
	v_or_b32_e32 v20, 0x1000, v2
	v_sub_nc_u32_e32 v9, 0x3f1, v6
	v_add_nc_u32_e32 v6, 0xfffffc10, v6
	v_cmp_ne_u32_e64 s3, 0, v2
	s_delay_alu instid0(VALU_DEP_3) | instskip(NEXT) | instid1(VALU_DEP_1)
	v_med3_i32 v9, v9, 0, 13
	v_lshrrev_b32_e32 v22, v9, v20
	s_delay_alu instid0(VALU_DEP_1) | instskip(NEXT) | instid1(VALU_DEP_1)
	v_lshlrev_b32_e32 v9, v9, v22
	v_cmp_ne_u32_e64 s2, v9, v20
	v_lshl_or_b32 v20, v6, 12, v2
	s_wait_alu 0xf1ff
	s_delay_alu instid0(VALU_DEP_2) | instskip(SKIP_1) | instid1(VALU_DEP_2)
	v_cndmask_b32_e64 v9, 0, 1, s2
	v_cmp_gt_i32_e64 s2, 1, v6
	v_or_b32_e32 v9, v22, v9
	v_add_nc_u32_e32 v22, 0xfffffc10, v24
	s_wait_alu 0xf1ff
	s_delay_alu instid0(VALU_DEP_2) | instskip(SKIP_4) | instid1(VALU_DEP_3)
	v_cndmask_b32_e64 v9, v20, v9, s2
	s_wait_alu 0xfffd
	v_cndmask_b32_e64 v20, 0, 1, vcc_lo
	v_lshl_or_b32 v24, v22, 12, v23
	v_cmp_gt_i32_e32 vcc_lo, 1, v22
	v_or_b32_e32 v20, v25, v20
	s_wait_alu 0xfffd
	s_delay_alu instid0(VALU_DEP_1) | instskip(SKIP_1) | instid1(VALU_DEP_2)
	v_cndmask_b32_e32 v20, v24, v20, vcc_lo
	v_and_b32_e32 v24, 7, v9
	v_and_b32_e32 v2, 7, v20
	s_delay_alu instid0(VALU_DEP_2) | instskip(SKIP_1) | instid1(VALU_DEP_3)
	v_cmp_lt_i32_e32 vcc_lo, 5, v24
	v_cmp_eq_u32_e64 s2, 3, v24
	v_cmp_lt_i32_e64 s4, 5, v2
	v_cmp_eq_u32_e64 s5, 3, v2
	v_lshrrev_b32_e32 v2, 2, v9
	s_delay_alu instid0(VALU_DEP_4) | instskip(SKIP_1) | instid1(VALU_DEP_3)
	s_or_b32 vcc_lo, s2, vcc_lo
	v_cndmask_b32_e64 v9, 0, 1, s3
	s_or_b32 s2, s5, s4
	s_wait_alu 0xfffe
	v_add_co_ci_u32_e32 v2, vcc_lo, 0, v2, vcc_lo
	v_cmp_gt_i32_e32 vcc_lo, 31, v6
	v_lshl_or_b32 v9, v9, 9, 0x7c00
	s_wait_alu 0xfffd
	s_delay_alu instid0(VALU_DEP_3) | instskip(SKIP_3) | instid1(VALU_DEP_3)
	v_cndmask_b32_e32 v2, 0x7c00, v2, vcc_lo
	v_cmp_eq_u32_e32 vcc_lo, 0x40f, v6
	v_lshrrev_b32_e32 v6, 16, v21
	s_wait_alu 0xfffd
	v_cndmask_b32_e32 v2, v2, v9, vcc_lo
	v_lshrrev_b32_e32 v9, 2, v20
	v_cmp_ne_u32_e32 vcc_lo, 0, v23
	v_lshrrev_b32_e32 v23, 16, v1
	s_delay_alu instid0(VALU_DEP_4) | instskip(NEXT) | instid1(VALU_DEP_4)
	v_and_or_b32 v2, 0x8000, v6, v2
	v_add_co_ci_u32_e64 v9, s2, 0, v9, s2
	v_cmp_gt_i32_e64 s2, 31, v22
	s_wait_alu 0xfffd
	v_cndmask_b32_e64 v20, 0, 1, vcc_lo
	v_cmp_eq_u32_e32 vcc_lo, 0x40f, v22
	v_and_b32_e32 v2, 0xffff, v2
	s_wait_alu 0xf1ff
	v_cndmask_b32_e64 v9, 0x7c00, v9, s2
	v_lshl_or_b32 v20, v20, 9, 0x7c00
	s_wait_alu 0xfffd
	s_delay_alu instid0(VALU_DEP_1) | instskip(NEXT) | instid1(VALU_DEP_1)
	v_cndmask_b32_e32 v9, v9, v20, vcc_lo
	v_and_or_b32 v6, 0x8000, v19, v9
	v_add_co_u32 v19, vcc_lo, v4, s8
	s_wait_alu 0xfffd
	v_add_co_ci_u32_e32 v20, vcc_lo, s9, v5, vcc_lo
	s_delay_alu instid0(VALU_DEP_3) | instskip(SKIP_2) | instid1(VALU_DEP_1)
	v_lshl_or_b32 v2, v6, 16, v2
	global_store_b32 v[4:5], v2, off
	v_cvt_f32_f16_e32 v2, v26
	v_cvt_f64_f32_e32 v[4:5], v2
	s_delay_alu instid0(VALU_DEP_1) | instskip(NEXT) | instid1(VALU_DEP_1)
	v_mul_f64_e32 v[4:5], s[10:11], v[4:5]
	v_and_or_b32 v2, 0x1ff, v5, v4
	v_lshrrev_b32_e32 v4, 8, v5
	s_delay_alu instid0(VALU_DEP_2) | instskip(SKIP_2) | instid1(VALU_DEP_1)
	v_cmp_ne_u32_e32 vcc_lo, 0, v2
	s_wait_alu 0xfffd
	v_cndmask_b32_e64 v2, 0, 1, vcc_lo
	v_and_or_b32 v2, 0xffe, v4, v2
	v_bfe_u32 v4, v5, 20, 11
	s_delay_alu instid0(VALU_DEP_2) | instskip(NEXT) | instid1(VALU_DEP_2)
	v_or_b32_e32 v21, 0x1000, v2
	v_sub_nc_u32_e32 v6, 0x3f1, v4
	v_add_nc_u32_e32 v4, 0xfffffc10, v4
	s_delay_alu instid0(VALU_DEP_2) | instskip(NEXT) | instid1(VALU_DEP_1)
	v_med3_i32 v6, v6, 0, 13
	v_lshrrev_b32_e32 v9, v6, v21
	s_delay_alu instid0(VALU_DEP_1) | instskip(NEXT) | instid1(VALU_DEP_1)
	v_lshlrev_b32_e32 v6, v6, v9
	v_cmp_ne_u32_e32 vcc_lo, v6, v21
	v_lshrrev_b32_e32 v21, 16, v100
	s_delay_alu instid0(VALU_DEP_1) | instskip(NEXT) | instid1(VALU_DEP_1)
	v_mul_f16_e32 v6, v21, v23
	v_fmac_f16_e32 v6, v100, v1
	v_mul_f16_e32 v1, v21, v1
	v_cvt_f64_f32_e32 v[21:22], v12
	s_delay_alu instid0(VALU_DEP_1) | instskip(NEXT) | instid1(VALU_DEP_1)
	v_mul_f64_e32 v[21:22], s[10:11], v[21:22]
	v_and_or_b32 v12, 0x1ff, v22, v21
	v_lshrrev_b32_e32 v21, 8, v22
	s_delay_alu instid0(VALU_DEP_2) | instskip(SKIP_1) | instid1(VALU_DEP_1)
	v_cmp_ne_u32_e64 s2, 0, v12
	s_wait_alu 0xf1ff
	v_cndmask_b32_e64 v12, 0, 1, s2
	s_delay_alu instid0(VALU_DEP_1) | instskip(SKIP_1) | instid1(VALU_DEP_2)
	v_and_or_b32 v12, 0xffe, v21, v12
	v_bfe_u32 v21, v22, 20, 11
	v_or_b32_e32 v25, 0x1000, v12
	s_delay_alu instid0(VALU_DEP_2) | instskip(SKIP_2) | instid1(VALU_DEP_3)
	v_sub_nc_u32_e32 v24, 0x3f1, v21
	v_add_nc_u32_e32 v21, 0xfffffc10, v21
	v_cmp_ne_u32_e64 s3, 0, v12
	v_med3_i32 v24, v24, 0, 13
	s_delay_alu instid0(VALU_DEP_1) | instskip(NEXT) | instid1(VALU_DEP_1)
	v_lshrrev_b32_e32 v26, v24, v25
	v_lshlrev_b32_e32 v24, v24, v26
	s_delay_alu instid0(VALU_DEP_1) | instskip(SKIP_2) | instid1(VALU_DEP_2)
	v_cmp_ne_u32_e64 s2, v24, v25
	v_lshl_or_b32 v25, v21, 12, v12
	s_wait_alu 0xf1ff
	v_cndmask_b32_e64 v24, 0, 1, s2
	v_cmp_gt_i32_e64 s2, 1, v21
	s_delay_alu instid0(VALU_DEP_2) | instskip(SKIP_2) | instid1(VALU_DEP_2)
	v_or_b32_e32 v24, v26, v24
	v_lshrrev_b32_e32 v26, 16, v87
	s_wait_alu 0xf1ff
	v_cndmask_b32_e64 v24, v25, v24, s2
	v_cndmask_b32_e64 v25, 0, 1, s0
	v_cmp_gt_i32_e64 s0, 1, v14
	s_delay_alu instid0(VALU_DEP_2) | instskip(SKIP_2) | instid1(VALU_DEP_1)
	v_or_b32_e32 v15, v15, v25
	v_lshl_or_b32 v25, v14, 12, v13
	s_wait_alu 0xf1ff
	v_cndmask_b32_e64 v15, v25, v15, s0
	v_and_b32_e32 v25, 7, v24
	s_delay_alu instid0(VALU_DEP_2) | instskip(NEXT) | instid1(VALU_DEP_2)
	v_and_b32_e32 v12, 7, v15
	v_cmp_lt_i32_e64 s0, 5, v25
	v_cmp_eq_u32_e64 s2, 3, v25
	s_delay_alu instid0(VALU_DEP_3) | instskip(SKIP_2) | instid1(VALU_DEP_4)
	v_cmp_lt_i32_e64 s4, 5, v12
	v_cmp_eq_u32_e64 s5, 3, v12
	v_lshrrev_b32_e32 v12, 2, v24
	s_or_b32 s0, s2, s0
	v_cndmask_b32_e64 v24, 0, 1, s3
	s_delay_alu instid0(VALU_DEP_3)
	s_or_b32 s2, s5, s4
	s_wait_alu 0xfffe
	v_add_co_ci_u32_e64 v12, s0, 0, v12, s0
	v_cmp_gt_i32_e64 s0, 31, v21
	v_lshl_or_b32 v24, v24, 9, 0x7c00
	s_wait_alu 0xf1ff
	s_delay_alu instid0(VALU_DEP_2) | instskip(SKIP_3) | instid1(VALU_DEP_2)
	v_cndmask_b32_e64 v12, 0x7c00, v12, s0
	v_cmp_eq_u32_e64 s0, 0x40f, v21
	v_lshrrev_b32_e32 v21, 16, v22
	s_wait_alu 0xf1ff
	v_cndmask_b32_e64 v12, v12, v24, s0
	v_cmp_ne_u32_e64 s0, 0, v13
	v_lshrrev_b32_e32 v13, 2, v15
	s_delay_alu instid0(VALU_DEP_3) | instskip(SKIP_1) | instid1(VALU_DEP_3)
	v_and_or_b32 v12, 0x8000, v21, v12
	s_wait_alu 0xf1ff
	v_cndmask_b32_e64 v15, 0, 1, s0
	s_delay_alu instid0(VALU_DEP_3) | instskip(SKIP_2) | instid1(VALU_DEP_4)
	v_add_co_ci_u32_e64 v13, s2, 0, v13, s2
	v_cmp_gt_i32_e64 s2, 31, v14
	v_cmp_eq_u32_e64 s0, 0x40f, v14
	v_lshl_or_b32 v15, v15, 9, 0x7c00
	v_and_b32_e32 v12, 0xffff, v12
	s_wait_alu 0xf1ff
	v_cndmask_b32_e64 v13, 0x7c00, v13, s2
	s_delay_alu instid0(VALU_DEP_1) | instskip(NEXT) | instid1(VALU_DEP_1)
	v_cndmask_b32_e64 v13, v13, v15, s0
	v_and_or_b32 v8, 0x8000, v8, v13
	s_delay_alu instid0(VALU_DEP_1)
	v_lshl_or_b32 v8, v8, 16, v12
	v_add_co_u32 v12, s0, v19, s6
	s_wait_alu 0xf1ff
	v_add_co_ci_u32_e64 v13, s0, s7, v20, s0
	global_store_b32 v[19:20], v8, off
	v_fma_f16 v8, v100, v23, -v1
	v_cvt_f64_f32_e32 v[0:1], v0
	s_delay_alu instid0(VALU_DEP_1) | instskip(NEXT) | instid1(VALU_DEP_1)
	v_mul_f64_e32 v[0:1], s[10:11], v[0:1]
	v_and_or_b32 v0, 0x1ff, v1, v0
	v_lshrrev_b32_e32 v14, 8, v1
	s_delay_alu instid0(VALU_DEP_2) | instskip(SKIP_1) | instid1(VALU_DEP_1)
	v_cmp_ne_u32_e64 s0, 0, v0
	s_wait_alu 0xf1ff
	v_cndmask_b32_e64 v0, 0, 1, s0
	s_delay_alu instid0(VALU_DEP_1) | instskip(SKIP_2) | instid1(VALU_DEP_3)
	v_and_or_b32 v0, 0xffe, v14, v0
	v_bfe_u32 v14, v1, 20, 11
	v_lshrrev_b32_e32 v1, 16, v1
	v_or_b32_e32 v19, 0x1000, v0
	s_delay_alu instid0(VALU_DEP_3) | instskip(SKIP_2) | instid1(VALU_DEP_3)
	v_sub_nc_u32_e32 v15, 0x3f1, v14
	v_add_nc_u32_e32 v14, 0xfffffc10, v14
	v_cmp_ne_u32_e64 s2, 0, v0
	v_med3_i32 v15, v15, 0, 13
	s_delay_alu instid0(VALU_DEP_1) | instskip(NEXT) | instid1(VALU_DEP_1)
	v_lshrrev_b32_e32 v20, v15, v19
	v_lshlrev_b32_e32 v15, v15, v20
	s_delay_alu instid0(VALU_DEP_1) | instskip(SKIP_2) | instid1(VALU_DEP_2)
	v_cmp_ne_u32_e64 s0, v15, v19
	v_lshl_or_b32 v19, v14, 12, v0
	s_wait_alu 0xf1ff
	v_cndmask_b32_e64 v15, 0, 1, s0
	v_cmp_gt_i32_e64 s0, 1, v14
	s_delay_alu instid0(VALU_DEP_2) | instskip(SKIP_1) | instid1(VALU_DEP_1)
	v_or_b32_e32 v15, v20, v15
	s_wait_alu 0xf1ff
	v_cndmask_b32_e64 v15, v19, v15, s0
	v_cndmask_b32_e64 v19, 0, 1, s1
	v_cmp_gt_i32_e64 s0, 1, v17
	s_delay_alu instid0(VALU_DEP_2) | instskip(SKIP_2) | instid1(VALU_DEP_1)
	v_or_b32_e32 v18, v18, v19
	v_lshl_or_b32 v19, v17, 12, v16
	s_wait_alu 0xf1ff
	v_cndmask_b32_e64 v18, v19, v18, s0
	v_and_b32_e32 v19, 7, v15
	s_delay_alu instid0(VALU_DEP_2) | instskip(NEXT) | instid1(VALU_DEP_2)
	v_and_b32_e32 v0, 7, v18
	v_cmp_lt_i32_e64 s0, 5, v19
	v_cmp_eq_u32_e64 s1, 3, v19
	s_delay_alu instid0(VALU_DEP_3) | instskip(SKIP_2) | instid1(VALU_DEP_4)
	v_cmp_lt_i32_e64 s3, 5, v0
	v_cmp_eq_u32_e64 s4, 3, v0
	v_lshrrev_b32_e32 v0, 2, v15
	s_or_b32 s0, s1, s0
	v_cndmask_b32_e64 v15, 0, 1, s2
	s_delay_alu instid0(VALU_DEP_3)
	s_or_b32 s1, s4, s3
	s_wait_alu 0xfffe
	v_add_co_ci_u32_e64 v0, s0, 0, v0, s0
	v_cmp_gt_i32_e64 s0, 31, v14
	v_lshl_or_b32 v15, v15, 9, 0x7c00
	s_wait_alu 0xf1ff
	s_delay_alu instid0(VALU_DEP_2) | instskip(SKIP_3) | instid1(VALU_DEP_2)
	v_cndmask_b32_e64 v0, 0x7c00, v0, s0
	v_cmp_eq_u32_e64 s0, 0x40f, v14
	v_lshrrev_b32_e32 v14, 2, v18
	s_wait_alu 0xf1ff
	v_cndmask_b32_e64 v0, v0, v15, s0
	v_cmp_ne_u32_e64 s0, 0, v16
	s_delay_alu instid0(VALU_DEP_3) | instskip(SKIP_1) | instid1(VALU_DEP_4)
	v_add_co_ci_u32_e64 v14, s1, 0, v14, s1
	v_cmp_gt_i32_e64 s1, 31, v17
	v_and_or_b32 v0, 0x8000, v1, v0
	s_wait_alu 0xf1ff
	v_cndmask_b32_e64 v15, 0, 1, s0
	v_cmp_eq_u32_e64 s0, 0x40f, v17
	v_cndmask_b32_e64 v14, 0x7c00, v14, s1
	v_and_b32_e32 v0, 0xffff, v0
	s_delay_alu instid0(VALU_DEP_4) | instskip(SKIP_1) | instid1(VALU_DEP_1)
	v_lshl_or_b32 v15, v15, 9, 0x7c00
	s_wait_alu 0xf1ff
	v_cndmask_b32_e64 v14, v14, v15, s0
	v_lshrrev_b32_e32 v15, 16, v99
	s_delay_alu instid0(VALU_DEP_2) | instskip(NEXT) | instid1(VALU_DEP_1)
	v_and_or_b32 v1, 0x8000, v10, v14
	v_lshl_or_b32 v0, v1, 16, v0
	global_store_b32 v[12:13], v0, off
	v_cvt_f32_f16_e32 v0, v27
	v_add_co_u32 v12, s0, v12, s6
	s_wait_alu 0xf1ff
	v_add_co_ci_u32_e64 v13, s0, s7, v13, s0
	s_delay_alu instid0(VALU_DEP_3) | instskip(SKIP_1) | instid1(VALU_DEP_2)
	v_cvt_f64_f32_e32 v[0:1], v0
	v_lshrrev_b32_e32 v27, 16, v89
	v_mul_f64_e32 v[0:1], s[10:11], v[0:1]
	s_delay_alu instid0(VALU_DEP_1) | instskip(SKIP_3) | instid1(VALU_DEP_4)
	v_and_or_b32 v0, 0x1ff, v1, v0
	v_lshrrev_b32_e32 v10, 8, v1
	v_bfe_u32 v16, v1, 20, 11
	v_lshrrev_b32_e32 v1, 16, v1
	v_cmp_ne_u32_e64 s0, 0, v0
	s_wait_alu 0xf1ff
	s_delay_alu instid0(VALU_DEP_1) | instskip(NEXT) | instid1(VALU_DEP_1)
	v_cndmask_b32_e64 v0, 0, 1, s0
	v_and_or_b32 v10, 0xffe, v10, v0
	v_sub_nc_u32_e32 v0, 0x3f1, v16
	s_delay_alu instid0(VALU_DEP_2) | instskip(NEXT) | instid1(VALU_DEP_2)
	v_or_b32_e32 v14, 0x1000, v10
	v_med3_i32 v0, v0, 0, 13
	s_delay_alu instid0(VALU_DEP_1) | instskip(NEXT) | instid1(VALU_DEP_1)
	v_lshrrev_b32_e32 v17, v0, v14
	v_lshlrev_b32_e32 v0, v0, v17
	s_delay_alu instid0(VALU_DEP_1) | instskip(SKIP_1) | instid1(VALU_DEP_1)
	v_cmp_ne_u32_e64 s0, v0, v14
	v_lshrrev_b32_e32 v14, 16, v3
	v_mul_f16_e32 v0, v15, v14
	v_mul_f16_e32 v15, v15, v3
	s_delay_alu instid0(VALU_DEP_2) | instskip(SKIP_1) | instid1(VALU_DEP_3)
	v_fmac_f16_e32 v0, v99, v3
	v_cvt_f32_f16_e32 v3, v11
	v_fma_f16 v18, v99, v14, -v15
	s_delay_alu instid0(VALU_DEP_3) | instskip(NEXT) | instid1(VALU_DEP_3)
	v_cvt_f32_f16_e32 v0, v0
	v_cvt_f64_f32_e32 v[14:15], v3
	s_delay_alu instid0(VALU_DEP_1) | instskip(NEXT) | instid1(VALU_DEP_1)
	v_mul_f64_e32 v[14:15], s[10:11], v[14:15]
	v_and_or_b32 v3, 0x1ff, v15, v14
	v_lshrrev_b32_e32 v11, 8, v15
	s_delay_alu instid0(VALU_DEP_2) | instskip(SKIP_1) | instid1(VALU_DEP_1)
	v_cmp_ne_u32_e64 s1, 0, v3
	s_wait_alu 0xf1ff
	v_cndmask_b32_e64 v3, 0, 1, s1
	s_delay_alu instid0(VALU_DEP_1) | instskip(SKIP_1) | instid1(VALU_DEP_2)
	v_and_or_b32 v3, 0xffe, v11, v3
	v_bfe_u32 v11, v15, 20, 11
	v_or_b32_e32 v19, 0x1000, v3
	s_delay_alu instid0(VALU_DEP_2) | instskip(SKIP_2) | instid1(VALU_DEP_3)
	v_sub_nc_u32_e32 v14, 0x3f1, v11
	v_add_nc_u32_e32 v11, 0xfffffc10, v11
	v_cmp_ne_u32_e64 s3, 0, v3
	v_med3_i32 v14, v14, 0, 13
	s_delay_alu instid0(VALU_DEP_1) | instskip(NEXT) | instid1(VALU_DEP_1)
	v_lshrrev_b32_e32 v20, v14, v19
	v_lshlrev_b32_e32 v14, v14, v20
	s_delay_alu instid0(VALU_DEP_1)
	v_cmp_ne_u32_e64 s1, v14, v19
	v_lshl_or_b32 v19, v11, 12, v3
	s_wait_alu 0xfffd
	v_cndmask_b32_e64 v3, 0, 1, vcc_lo
	v_cmp_gt_i32_e32 vcc_lo, 1, v4
	s_wait_alu 0xf1ff
	v_cndmask_b32_e64 v14, 0, 1, s1
	v_cmp_gt_i32_e64 s1, 1, v11
	v_or_b32_e32 v3, v9, v3
	v_lshl_or_b32 v9, v4, 12, v2
	s_delay_alu instid0(VALU_DEP_4) | instskip(SKIP_1) | instid1(VALU_DEP_2)
	v_or_b32_e32 v14, v20, v14
	s_wait_alu 0xfffd
	v_cndmask_b32_e32 v3, v9, v3, vcc_lo
	s_wait_alu 0xf1ff
	s_delay_alu instid0(VALU_DEP_2) | instskip(NEXT) | instid1(VALU_DEP_1)
	v_cndmask_b32_e64 v14, v19, v14, s1
	v_and_b32_e32 v19, 7, v14
	v_lshrrev_b32_e32 v9, 2, v14
	v_cndmask_b32_e64 v14, 0, 1, s3
	s_delay_alu instid0(VALU_DEP_3) | instskip(SKIP_1) | instid1(VALU_DEP_3)
	v_cmp_lt_i32_e64 s1, 5, v19
	v_cmp_eq_u32_e64 s2, 3, v19
	v_lshl_or_b32 v14, v14, 9, 0x7c00
	s_delay_alu instid0(VALU_DEP_2)
	s_or_b32 vcc_lo, s2, s1
	v_cmp_ne_u32_e64 s2, 0, v2
	s_wait_alu 0xfffe
	v_add_co_ci_u32_e32 v9, vcc_lo, 0, v9, vcc_lo
	v_cmp_gt_i32_e32 vcc_lo, 31, v11
	v_lshrrev_b32_e32 v2, 2, v3
	s_wait_alu 0xfffd
	s_delay_alu instid0(VALU_DEP_3) | instskip(SKIP_3) | instid1(VALU_DEP_3)
	v_cndmask_b32_e32 v9, 0x7c00, v9, vcc_lo
	v_cmp_eq_u32_e32 vcc_lo, 0x40f, v11
	v_lshrrev_b32_e32 v11, 16, v15
	s_wait_alu 0xfffd
	v_dual_cndmask_b32 v9, v9, v14 :: v_dual_and_b32 v14, 7, v3
	s_wait_alu 0xf1ff
	v_cndmask_b32_e64 v3, 0, 1, s2
	s_delay_alu instid0(VALU_DEP_2) | instskip(SKIP_1) | instid1(VALU_DEP_3)
	v_cmp_lt_i32_e32 vcc_lo, 5, v14
	v_cmp_eq_u32_e64 s1, 3, v14
	v_lshl_or_b32 v3, v3, 9, 0x7c00
	s_delay_alu instid0(VALU_DEP_2) | instskip(SKIP_4) | instid1(VALU_DEP_2)
	s_or_b32 vcc_lo, s1, vcc_lo
	s_wait_alu 0xfffe
	v_add_co_ci_u32_e32 v2, vcc_lo, 0, v2, vcc_lo
	v_cmp_gt_i32_e32 vcc_lo, 31, v4
	s_wait_alu 0xfffd
	v_cndmask_b32_e32 v2, 0x7c00, v2, vcc_lo
	v_cmp_eq_u32_e32 vcc_lo, 0x40f, v4
	v_and_or_b32 v4, 0x8000, v11, v9
	s_wait_alu 0xfffd
	s_delay_alu instid0(VALU_DEP_3) | instskip(SKIP_1) | instid1(VALU_DEP_1)
	v_cndmask_b32_e32 v2, v2, v3, vcc_lo
	v_lshrrev_b32_e32 v3, 16, v5
	v_and_or_b32 v2, 0x8000, v3, v2
	v_and_b32_e32 v3, 0xffff, v4
	v_cvt_f32_f16_e32 v4, v7
	s_delay_alu instid0(VALU_DEP_2) | instskip(NEXT) | instid1(VALU_DEP_2)
	v_lshl_or_b32 v2, v2, 16, v3
	v_cvt_f64_f32_e32 v[4:5], v4
	global_store_b32 v[12:13], v2, off
	v_add_co_u32 v2, vcc_lo, v12, s6
	s_wait_alu 0xfffd
	v_add_co_ci_u32_e32 v3, vcc_lo, s7, v13, vcc_lo
	v_mul_f64_e32 v[4:5], s[10:11], v[4:5]
	s_delay_alu instid0(VALU_DEP_1) | instskip(SKIP_1) | instid1(VALU_DEP_2)
	v_and_or_b32 v4, 0x1ff, v5, v4
	v_lshrrev_b32_e32 v7, 8, v5
	v_cmp_ne_u32_e32 vcc_lo, 0, v4
	s_wait_alu 0xfffd
	v_cndmask_b32_e64 v4, 0, 1, vcc_lo
	s_delay_alu instid0(VALU_DEP_1) | instskip(SKIP_1) | instid1(VALU_DEP_2)
	v_and_or_b32 v4, 0xffe, v7, v4
	v_bfe_u32 v7, v5, 20, 11
	v_or_b32_e32 v11, 0x1000, v4
	s_delay_alu instid0(VALU_DEP_2) | instskip(NEXT) | instid1(VALU_DEP_1)
	v_sub_nc_u32_e32 v9, 0x3f1, v7
	v_med3_i32 v9, v9, 0, 13
	s_delay_alu instid0(VALU_DEP_1) | instskip(NEXT) | instid1(VALU_DEP_1)
	v_lshrrev_b32_e32 v12, v9, v11
	v_lshlrev_b32_e32 v9, v9, v12
	s_delay_alu instid0(VALU_DEP_1) | instskip(SKIP_3) | instid1(VALU_DEP_2)
	v_cmp_ne_u32_e32 vcc_lo, v9, v11
	v_add_nc_u32_e32 v11, 0xfffffc10, v7
	s_wait_alu 0xfffd
	v_cndmask_b32_e64 v9, 0, 1, vcc_lo
	v_lshl_or_b32 v7, v11, 12, v4
	v_cmp_gt_i32_e32 vcc_lo, 1, v11
	s_delay_alu instid0(VALU_DEP_3) | instskip(SKIP_1) | instid1(VALU_DEP_1)
	v_or_b32_e32 v9, v12, v9
	s_wait_alu 0xfffd
	v_cndmask_b32_e32 v12, v7, v9, vcc_lo
	v_cvt_f32_f16_e32 v7, v8
	s_delay_alu instid0(VALU_DEP_1) | instskip(NEXT) | instid1(VALU_DEP_1)
	v_cvt_f64_f32_e32 v[7:8], v7
	v_mul_f64_e32 v[8:9], s[10:11], v[7:8]
	s_delay_alu instid0(VALU_DEP_1) | instskip(SKIP_1) | instid1(VALU_DEP_2)
	v_and_or_b32 v7, 0x1ff, v9, v8
	v_lshrrev_b32_e32 v8, 8, v9
	v_cmp_ne_u32_e32 vcc_lo, 0, v7
	s_wait_alu 0xfffd
	v_cndmask_b32_e64 v7, 0, 1, vcc_lo
	s_delay_alu instid0(VALU_DEP_1) | instskip(SKIP_1) | instid1(VALU_DEP_1)
	v_and_or_b32 v19, 0xffe, v8, v7
	v_and_b32_e32 v7, 7, v12
	v_cmp_lt_i32_e32 vcc_lo, 5, v7
	v_cmp_eq_u32_e64 s1, 3, v7
	v_cndmask_b32_e64 v7, 0, 1, s0
	v_cmp_ne_u32_e64 s0, 0, v4
	v_add_nc_u32_e32 v4, 0xfffffc10, v16
	s_delay_alu instid0(VALU_DEP_4) | instskip(NEXT) | instid1(VALU_DEP_3)
	s_or_b32 vcc_lo, s1, vcc_lo
	v_or_b32_e32 v7, v17, v7
	v_cmp_ne_u32_e64 s1, 0, v10
	s_delay_alu instid0(VALU_DEP_3) | instskip(SKIP_4) | instid1(VALU_DEP_3)
	v_lshl_or_b32 v8, v4, 12, v10
	v_cmp_gt_i32_e64 s2, 1, v4
	v_bfe_u32 v10, v9, 20, 11
	v_lshrrev_b32_e32 v9, 16, v9
	s_wait_alu 0xf1ff
	v_cndmask_b32_e64 v7, v8, v7, s2
	v_lshrrev_b32_e32 v8, 2, v12
	v_cndmask_b32_e64 v12, 0, 1, s0
	s_wait_alu 0xfffe
	s_delay_alu instid0(VALU_DEP_2) | instskip(SKIP_1) | instid1(VALU_DEP_3)
	v_add_co_ci_u32_e32 v8, vcc_lo, 0, v8, vcc_lo
	v_cmp_gt_i32_e32 vcc_lo, 31, v11
	v_lshl_or_b32 v12, v12, 9, 0x7c00
	s_wait_alu 0xfffd
	s_delay_alu instid0(VALU_DEP_3) | instskip(SKIP_2) | instid1(VALU_DEP_2)
	v_cndmask_b32_e32 v8, 0x7c00, v8, vcc_lo
	v_cmp_eq_u32_e32 vcc_lo, 0x40f, v11
	s_wait_alu 0xfffd
	v_dual_cndmask_b32 v8, v8, v12 :: v_dual_and_b32 v11, 7, v7
	s_delay_alu instid0(VALU_DEP_1) | instskip(SKIP_4) | instid1(VALU_DEP_4)
	v_cmp_lt_i32_e32 vcc_lo, 5, v11
	v_cmp_eq_u32_e64 s0, 3, v11
	v_lshrrev_b32_e32 v11, 16, v5
	v_lshrrev_b32_e32 v5, 2, v7
	v_cndmask_b32_e64 v7, 0, 1, s1
	s_or_b32 vcc_lo, s0, vcc_lo
	s_delay_alu instid0(VALU_DEP_3)
	v_and_or_b32 v8, 0x8000, v11, v8
	s_wait_alu 0xfffe
	v_add_co_ci_u32_e32 v5, vcc_lo, 0, v5, vcc_lo
	v_cmp_gt_i32_e32 vcc_lo, 31, v4
	v_lshl_or_b32 v7, v7, 9, 0x7c00
	v_sub_nc_u32_e32 v11, 0x3f1, v10
	s_wait_alu 0xfffd
	v_cndmask_b32_e32 v5, 0x7c00, v5, vcc_lo
	v_cmp_eq_u32_e32 vcc_lo, 0x40f, v4
	v_cvt_f32_f16_e32 v4, v18
	v_med3_i32 v11, v11, 0, 13
	s_wait_alu 0xfffd
	v_cndmask_b32_e32 v7, v5, v7, vcc_lo
	s_delay_alu instid0(VALU_DEP_3)
	v_cvt_f64_f32_e32 v[4:5], v4
	v_add_co_u32 v13, vcc_lo, v2, s6
	s_wait_alu 0xfffd
	v_add_co_ci_u32_e32 v14, vcc_lo, s7, v3, vcc_lo
	v_and_or_b32 v1, 0x8000, v1, v7
	v_and_b32_e32 v7, 0xffff, v8
	v_or_b32_e32 v8, 0x1000, v19
	s_delay_alu instid0(VALU_DEP_2) | instskip(NEXT) | instid1(VALU_DEP_2)
	v_lshl_or_b32 v1, v1, 16, v7
	v_lshrrev_b32_e32 v17, v11, v8
	global_store_b32 v[2:3], v1, off
	v_lshlrev_b32_e32 v7, v11, v17
	s_delay_alu instid0(VALU_DEP_1) | instskip(SKIP_1) | instid1(VALU_DEP_1)
	v_cmp_ne_u32_e64 s1, v7, v8
	v_mul_f64_e32 v[4:5], s[10:11], v[4:5]
	v_and_or_b32 v1, 0x1ff, v5, v4
	v_lshrrev_b32_e32 v2, 8, v5
	v_bfe_u32 v18, v5, 20, 11
	ds_load_2addr_b32 v[3:4], v96 offset0:32 offset1:176
	v_lshrrev_b32_e32 v5, 16, v5
	v_cmp_ne_u32_e32 vcc_lo, 0, v1
	s_wait_alu 0xfffd
	v_cndmask_b32_e64 v1, 0, 1, vcc_lo
	s_delay_alu instid0(VALU_DEP_1) | instskip(SKIP_1) | instid1(VALU_DEP_2)
	v_and_or_b32 v20, 0xffe, v2, v1
	v_sub_nc_u32_e32 v1, 0x3f1, v18
	v_or_b32_e32 v2, 0x1000, v20
	s_delay_alu instid0(VALU_DEP_2) | instskip(SKIP_2) | instid1(VALU_DEP_2)
	v_med3_i32 v1, v1, 0, 13
	s_wait_dscnt 0x0
	v_lshrrev_b32_e32 v7, 16, v3
	v_lshrrev_b32_e32 v21, v1, v2
	s_delay_alu instid0(VALU_DEP_1) | instskip(NEXT) | instid1(VALU_DEP_1)
	v_lshlrev_b32_e32 v1, v1, v21
	v_cmp_ne_u32_e64 s0, v1, v2
	v_mul_f16_e32 v1, v27, v3
	s_delay_alu instid0(VALU_DEP_1) | instskip(NEXT) | instid1(VALU_DEP_1)
	v_fma_f16 v1, v89, v7, -v1
	v_cvt_f32_f16_e32 v1, v1
	s_delay_alu instid0(VALU_DEP_1) | instskip(NEXT) | instid1(VALU_DEP_1)
	v_cvt_f64_f32_e32 v[1:2], v1
	v_mul_f64_e32 v[1:2], s[10:11], v[1:2]
	s_delay_alu instid0(VALU_DEP_1) | instskip(SKIP_3) | instid1(VALU_DEP_4)
	v_and_or_b32 v1, 0x1ff, v2, v1
	v_lshrrev_b32_e32 v8, 8, v2
	v_bfe_u32 v11, v2, 20, 11
	v_lshrrev_b32_e32 v2, 16, v2
	v_cmp_ne_u32_e32 vcc_lo, 0, v1
	s_wait_alu 0xfffd
	v_cndmask_b32_e64 v1, 0, 1, vcc_lo
	s_delay_alu instid0(VALU_DEP_1) | instskip(SKIP_1) | instid1(VALU_DEP_2)
	v_and_or_b32 v8, 0xffe, v8, v1
	v_sub_nc_u32_e32 v1, 0x3f1, v11
	v_or_b32_e32 v15, 0x1000, v8
	s_delay_alu instid0(VALU_DEP_2) | instskip(NEXT) | instid1(VALU_DEP_1)
	v_med3_i32 v1, v1, 0, 13
	v_lshrrev_b32_e32 v12, v1, v15
	s_delay_alu instid0(VALU_DEP_1) | instskip(NEXT) | instid1(VALU_DEP_1)
	v_lshlrev_b32_e32 v1, v1, v12
	v_cmp_ne_u32_e32 vcc_lo, v1, v15
	v_cvt_f32_f16_e32 v1, v6
	s_delay_alu instid0(VALU_DEP_1) | instskip(NEXT) | instid1(VALU_DEP_1)
	v_cvt_f64_f32_e32 v[15:16], v1
	v_mul_f64_e32 v[15:16], s[10:11], v[15:16]
	s_delay_alu instid0(VALU_DEP_1) | instskip(SKIP_1) | instid1(VALU_DEP_2)
	v_and_or_b32 v1, 0x1ff, v16, v15
	v_lshrrev_b32_e32 v6, 8, v16
	v_cmp_ne_u32_e64 s2, 0, v1
	s_wait_alu 0xf1ff
	s_delay_alu instid0(VALU_DEP_1) | instskip(NEXT) | instid1(VALU_DEP_1)
	v_cndmask_b32_e64 v1, 0, 1, s2
	v_and_or_b32 v1, 0xffe, v6, v1
	v_bfe_u32 v6, v16, 20, 11
	s_delay_alu instid0(VALU_DEP_2) | instskip(NEXT) | instid1(VALU_DEP_2)
	v_or_b32_e32 v22, 0x1000, v1
	v_sub_nc_u32_e32 v15, 0x3f1, v6
	v_add_nc_u32_e32 v6, 0xfffffc10, v6
	s_delay_alu instid0(VALU_DEP_2) | instskip(NEXT) | instid1(VALU_DEP_1)
	v_med3_i32 v15, v15, 0, 13
	v_lshrrev_b32_e32 v23, v15, v22
	s_delay_alu instid0(VALU_DEP_1) | instskip(NEXT) | instid1(VALU_DEP_1)
	v_lshlrev_b32_e32 v15, v15, v23
	v_cmp_ne_u32_e64 s2, v15, v22
	v_lshl_or_b32 v22, v6, 12, v1
	s_wait_alu 0xf1ff
	s_delay_alu instid0(VALU_DEP_2) | instskip(SKIP_1) | instid1(VALU_DEP_2)
	v_cndmask_b32_e64 v15, 0, 1, s2
	v_cmp_gt_i32_e64 s2, 1, v6
	v_or_b32_e32 v15, v23, v15
	s_wait_alu 0xf1ff
	s_delay_alu instid0(VALU_DEP_1) | instskip(NEXT) | instid1(VALU_DEP_1)
	v_cndmask_b32_e64 v15, v22, v15, s2
	v_and_b32_e32 v22, 7, v15
	v_lshrrev_b32_e32 v15, 2, v15
	s_delay_alu instid0(VALU_DEP_2) | instskip(SKIP_4) | instid1(VALU_DEP_4)
	v_cmp_lt_i32_e64 s2, 5, v22
	v_cmp_eq_u32_e64 s3, 3, v22
	v_cndmask_b32_e64 v22, 0, 1, s1
	v_cmp_ne_u32_e64 s1, 0, v1
	v_add_nc_u32_e32 v1, 0xfffffc10, v10
	s_or_b32 s2, s3, s2
	s_delay_alu instid0(VALU_DEP_3)
	v_or_b32_e32 v17, v17, v22
	s_wait_alu 0xfffe
	v_add_co_ci_u32_e64 v15, s2, 0, v15, s2
	v_lshl_or_b32 v10, v1, 12, v19
	v_cmp_gt_i32_e64 s4, 1, v1
	v_cmp_gt_i32_e64 s2, 31, v6
	v_cmp_ne_u32_e64 s3, 0, v19
	s_wait_alu 0xf1ff
	s_delay_alu instid0(VALU_DEP_3) | instskip(SKIP_3) | instid1(VALU_DEP_3)
	v_cndmask_b32_e64 v10, v10, v17, s4
	v_cndmask_b32_e64 v17, 0, 1, s1
	;; [unrolled: 1-line block ×3, first 2 shown]
	v_cmp_eq_u32_e64 s1, 0x40f, v6
	v_lshl_or_b32 v17, v17, 9, 0x7c00
	s_wait_alu 0xf1ff
	s_delay_alu instid0(VALU_DEP_1) | instskip(SKIP_4) | instid1(VALU_DEP_4)
	v_cndmask_b32_e64 v6, v15, v17, s1
	v_lshrrev_b32_e32 v15, 16, v16
	v_and_b32_e32 v16, 7, v10
	v_lshrrev_b32_e32 v10, 2, v10
	v_lshrrev_b32_e32 v17, 16, v88
	v_and_or_b32 v6, 0x8000, v15, v6
	s_delay_alu instid0(VALU_DEP_4) | instskip(SKIP_2) | instid1(VALU_DEP_4)
	v_cmp_lt_i32_e64 s1, 5, v16
	v_cmp_eq_u32_e64 s2, 3, v16
	v_cndmask_b32_e64 v16, 0, 1, s3
	v_and_b32_e32 v6, 0xffff, v6
	s_delay_alu instid0(VALU_DEP_3) | instskip(NEXT) | instid1(VALU_DEP_2)
	s_or_b32 s1, s2, s1
	v_lshl_or_b32 v16, v16, 9, 0x7c00
	s_wait_alu 0xfffe
	v_add_co_ci_u32_e64 v10, s1, 0, v10, s1
	v_cmp_gt_i32_e64 s1, 31, v1
	s_wait_alu 0xf1ff
	s_delay_alu instid0(VALU_DEP_1) | instskip(SKIP_2) | instid1(VALU_DEP_1)
	v_cndmask_b32_e64 v10, 0x7c00, v10, s1
	v_cmp_eq_u32_e64 s1, 0x40f, v1
	s_wait_alu 0xf1ff
	v_cndmask_b32_e64 v1, v10, v16, s1
	s_delay_alu instid0(VALU_DEP_1) | instskip(SKIP_3) | instid1(VALU_DEP_3)
	v_and_or_b32 v1, 0x8000, v9, v1
	v_add_co_u32 v9, s1, v13, s6
	s_wait_alu 0xf1ff
	v_add_co_ci_u32_e64 v10, s1, s7, v14, s1
	v_lshl_or_b32 v1, v1, 16, v6
	global_store_b32 v[13:14], v1, off
	v_cvt_f64_f32_e32 v[0:1], v0
	s_delay_alu instid0(VALU_DEP_1) | instskip(NEXT) | instid1(VALU_DEP_1)
	v_mul_f64_e32 v[0:1], s[10:11], v[0:1]
	v_and_or_b32 v0, 0x1ff, v1, v0
	v_lshrrev_b32_e32 v6, 8, v1
	s_delay_alu instid0(VALU_DEP_2) | instskip(SKIP_1) | instid1(VALU_DEP_1)
	v_cmp_ne_u32_e64 s1, 0, v0
	s_wait_alu 0xf1ff
	v_cndmask_b32_e64 v0, 0, 1, s1
	s_delay_alu instid0(VALU_DEP_1) | instskip(SKIP_1) | instid1(VALU_DEP_2)
	v_and_or_b32 v0, 0xffe, v6, v0
	v_bfe_u32 v6, v1, 20, 11
	v_or_b32_e32 v14, 0x1000, v0
	s_delay_alu instid0(VALU_DEP_2) | instskip(SKIP_1) | instid1(VALU_DEP_2)
	v_sub_nc_u32_e32 v13, 0x3f1, v6
	v_add_nc_u32_e32 v6, 0xfffffc10, v6
	v_med3_i32 v13, v13, 0, 13
	s_delay_alu instid0(VALU_DEP_1) | instskip(NEXT) | instid1(VALU_DEP_1)
	v_lshrrev_b32_e32 v15, v13, v14
	v_lshlrev_b32_e32 v13, v13, v15
	s_delay_alu instid0(VALU_DEP_1) | instskip(SKIP_2) | instid1(VALU_DEP_2)
	v_cmp_ne_u32_e64 s1, v13, v14
	v_lshl_or_b32 v14, v6, 12, v0
	s_wait_alu 0xf1ff
	v_cndmask_b32_e64 v13, 0, 1, s1
	v_cmp_gt_i32_e64 s1, 1, v6
	s_delay_alu instid0(VALU_DEP_2) | instskip(SKIP_1) | instid1(VALU_DEP_1)
	v_or_b32_e32 v13, v15, v13
	s_wait_alu 0xf1ff
	v_cndmask_b32_e64 v13, v14, v13, s1
	s_delay_alu instid0(VALU_DEP_1) | instskip(SKIP_1) | instid1(VALU_DEP_2)
	v_and_b32_e32 v14, 7, v13
	v_lshrrev_b32_e32 v13, 2, v13
	v_cmp_lt_i32_e64 s1, 5, v14
	v_cmp_eq_u32_e64 s2, 3, v14
	v_cndmask_b32_e64 v14, 0, 1, s0
	v_cmp_ne_u32_e64 s0, 0, v0
	v_add_nc_u32_e32 v0, 0xfffffc10, v18
	s_delay_alu instid0(VALU_DEP_4) | instskip(NEXT) | instid1(VALU_DEP_3)
	s_or_b32 s1, s2, s1
	v_or_b32_e32 v14, v21, v14
	s_wait_alu 0xfffe
	v_add_co_ci_u32_e64 v13, s1, 0, v13, s1
	v_lshl_or_b32 v15, v0, 12, v20
	v_cmp_gt_i32_e64 s3, 1, v0
	v_cmp_gt_i32_e64 s1, 31, v6
	v_cmp_ne_u32_e64 s2, 0, v20
	s_wait_alu 0xf1ff
	s_delay_alu instid0(VALU_DEP_3) | instskip(SKIP_3) | instid1(VALU_DEP_3)
	v_cndmask_b32_e64 v14, v15, v14, s3
	v_cndmask_b32_e64 v15, 0, 1, s0
	;; [unrolled: 1-line block ×3, first 2 shown]
	v_cmp_eq_u32_e64 s0, 0x40f, v6
	v_lshl_or_b32 v15, v15, 9, 0x7c00
	s_wait_alu 0xf1ff
	s_delay_alu instid0(VALU_DEP_1) | instskip(SKIP_1) | instid1(VALU_DEP_1)
	v_cndmask_b32_e64 v6, v13, v15, s0
	v_and_b32_e32 v13, 7, v14
	v_cmp_lt_i32_e64 s0, 5, v13
	v_cmp_eq_u32_e64 s1, 3, v13
	v_lshrrev_b32_e32 v13, 16, v1
	v_lshrrev_b32_e32 v1, 2, v14
	v_cndmask_b32_e64 v14, 0, 1, s2
	s_delay_alu instid0(VALU_DEP_4) | instskip(NEXT) | instid1(VALU_DEP_3)
	s_or_b32 s0, s1, s0
	v_and_or_b32 v6, 0x8000, v13, v6
	s_wait_alu 0xfffe
	v_add_co_ci_u32_e64 v1, s0, 0, v1, s0
	v_cmp_gt_i32_e64 s0, 31, v0
	v_lshl_or_b32 v14, v14, 9, 0x7c00
	v_and_b32_e32 v6, 0xffff, v6
	s_wait_alu 0xf1ff
	s_delay_alu instid0(VALU_DEP_3) | instskip(SKIP_2) | instid1(VALU_DEP_1)
	v_cndmask_b32_e64 v1, 0x7c00, v1, s0
	v_cmp_eq_u32_e64 s0, 0x40f, v0
	s_wait_alu 0xf1ff
	v_cndmask_b32_e64 v14, v1, v14, s0
	ds_load_2addr_b32 v[0:1], v98 offset0:96 offset1:240
	v_and_or_b32 v5, 0x8000, v5, v14
	s_delay_alu instid0(VALU_DEP_1) | instskip(SKIP_4) | instid1(VALU_DEP_1)
	v_lshl_or_b32 v5, v5, 16, v6
	global_store_b32 v[9:10], v5, off
	s_wait_dscnt 0x0
	v_lshrrev_b32_e32 v19, 16, v0
	v_mul_f16_e32 v13, v26, v0
	v_fma_f16 v6, v87, v19, -v13
	v_add_co_u32 v13, s0, v9, s8
	s_wait_alu 0xf1ff
	v_add_co_ci_u32_e64 v14, s0, s9, v10, s0
	s_delay_alu instid0(VALU_DEP_3) | instskip(NEXT) | instid1(VALU_DEP_1)
	v_cvt_f32_f16_e32 v5, v6
	v_cvt_f64_f32_e32 v[5:6], v5
	s_delay_alu instid0(VALU_DEP_1) | instskip(NEXT) | instid1(VALU_DEP_1)
	v_mul_f64_e32 v[15:16], s[10:11], v[5:6]
	v_and_or_b32 v5, 0x1ff, v16, v15
	v_lshrrev_b32_e32 v6, 8, v16
	v_bfe_u32 v20, v16, 20, 11
	s_delay_alu instid0(VALU_DEP_3) | instskip(SKIP_1) | instid1(VALU_DEP_1)
	v_cmp_ne_u32_e64 s0, 0, v5
	s_wait_alu 0xf1ff
	v_cndmask_b32_e64 v5, 0, 1, s0
	s_delay_alu instid0(VALU_DEP_1) | instskip(SKIP_1) | instid1(VALU_DEP_2)
	v_and_or_b32 v15, 0xffe, v6, v5
	v_sub_nc_u32_e32 v5, 0x3f1, v20
	v_or_b32_e32 v6, 0x1000, v15
	s_delay_alu instid0(VALU_DEP_2) | instskip(NEXT) | instid1(VALU_DEP_1)
	v_med3_i32 v5, v5, 0, 13
	v_lshrrev_b32_e32 v21, v5, v6
	s_delay_alu instid0(VALU_DEP_1) | instskip(NEXT) | instid1(VALU_DEP_1)
	v_lshlrev_b32_e32 v5, v5, v21
	v_cmp_ne_u32_e64 s1, v5, v6
	ds_load_2addr_b32 v[5:6], v97 offset0:32 offset1:176
	s_wait_dscnt 0x0
	v_lshrrev_b32_e32 v9, 16, v5
	v_mul_f16_e32 v10, v17, v5
	s_delay_alu instid0(VALU_DEP_2) | instskip(NEXT) | instid1(VALU_DEP_2)
	v_mul_f16_e32 v17, v17, v9
	v_fma_f16 v22, v88, v9, -v10
	s_delay_alu instid0(VALU_DEP_2) | instskip(NEXT) | instid1(VALU_DEP_1)
	v_fmac_f16_e32 v17, v88, v5
	v_cvt_f32_f16_e32 v5, v17
	s_delay_alu instid0(VALU_DEP_1) | instskip(NEXT) | instid1(VALU_DEP_1)
	v_cvt_f64_f32_e32 v[9:10], v5
	v_mul_f64_e32 v[9:10], s[10:11], v[9:10]
	s_delay_alu instid0(VALU_DEP_1) | instskip(SKIP_3) | instid1(VALU_DEP_4)
	v_and_or_b32 v5, 0x1ff, v10, v9
	v_lshrrev_b32_e32 v9, 8, v10
	v_bfe_u32 v24, v10, 20, 11
	v_lshrrev_b32_e32 v10, 16, v10
	v_cmp_ne_u32_e64 s0, 0, v5
	s_wait_alu 0xf1ff
	s_delay_alu instid0(VALU_DEP_1) | instskip(NEXT) | instid1(VALU_DEP_1)
	v_cndmask_b32_e64 v5, 0, 1, s0
	v_and_or_b32 v23, 0xffe, v9, v5
	v_sub_nc_u32_e32 v5, 0x3f1, v24
	s_delay_alu instid0(VALU_DEP_2) | instskip(NEXT) | instid1(VALU_DEP_2)
	v_or_b32_e32 v9, 0x1000, v23
	v_med3_i32 v5, v5, 0, 13
	s_delay_alu instid0(VALU_DEP_1) | instskip(NEXT) | instid1(VALU_DEP_1)
	v_lshrrev_b32_e32 v25, v5, v9
	v_lshlrev_b32_e32 v5, v5, v25
	s_delay_alu instid0(VALU_DEP_1) | instskip(SKIP_1) | instid1(VALU_DEP_1)
	v_cmp_ne_u32_e64 s0, v5, v9
	v_mul_f16_e32 v5, v27, v7
	v_fmac_f16_e32 v5, v89, v3
	s_delay_alu instid0(VALU_DEP_1) | instskip(NEXT) | instid1(VALU_DEP_1)
	v_cvt_f32_f16_e32 v3, v5
	v_cvt_f64_f32_e32 v[17:18], v3
	s_delay_alu instid0(VALU_DEP_1) | instskip(NEXT) | instid1(VALU_DEP_1)
	v_mul_f64_e32 v[17:18], s[10:11], v[17:18]
	v_and_or_b32 v3, 0x1ff, v18, v17
	v_lshrrev_b32_e32 v5, 8, v18
	s_delay_alu instid0(VALU_DEP_2) | instskip(SKIP_1) | instid1(VALU_DEP_1)
	v_cmp_ne_u32_e64 s2, 0, v3
	s_wait_alu 0xf1ff
	v_cndmask_b32_e64 v3, 0, 1, s2
	s_delay_alu instid0(VALU_DEP_1) | instskip(SKIP_1) | instid1(VALU_DEP_2)
	v_and_or_b32 v3, 0xffe, v5, v3
	v_bfe_u32 v5, v18, 20, 11
	v_or_b32_e32 v9, 0x1000, v3
	s_delay_alu instid0(VALU_DEP_2) | instskip(SKIP_1) | instid1(VALU_DEP_2)
	v_sub_nc_u32_e32 v7, 0x3f1, v5
	v_add_nc_u32_e32 v5, 0xfffffc10, v5
	v_med3_i32 v7, v7, 0, 13
	s_delay_alu instid0(VALU_DEP_1) | instskip(NEXT) | instid1(VALU_DEP_1)
	v_lshrrev_b32_e32 v17, v7, v9
	v_lshlrev_b32_e32 v7, v7, v17
	s_delay_alu instid0(VALU_DEP_1) | instskip(SKIP_2) | instid1(VALU_DEP_2)
	v_cmp_ne_u32_e64 s2, v7, v9
	v_lshl_or_b32 v9, v5, 12, v3
	s_wait_alu 0xf1ff
	v_cndmask_b32_e64 v7, 0, 1, s2
	v_cmp_gt_i32_e64 s2, 1, v5
	s_delay_alu instid0(VALU_DEP_2) | instskip(SKIP_1) | instid1(VALU_DEP_1)
	v_or_b32_e32 v7, v17, v7
	s_wait_alu 0xf1ff
	v_cndmask_b32_e64 v7, v9, v7, s2
	s_delay_alu instid0(VALU_DEP_1) | instskip(SKIP_1) | instid1(VALU_DEP_2)
	v_and_b32_e32 v9, 7, v7
	v_lshrrev_b32_e32 v7, 2, v7
	v_cmp_lt_i32_e64 s2, 5, v9
	v_cmp_eq_u32_e64 s3, 3, v9
	s_wait_alu 0xfffd
	v_cndmask_b32_e64 v9, 0, 1, vcc_lo
	v_cmp_ne_u32_e32 vcc_lo, 0, v3
	v_add_nc_u32_e32 v3, 0xfffffc10, v11
	s_or_b32 s2, s3, s2
	s_delay_alu instid0(VALU_DEP_3)
	v_or_b32_e32 v9, v12, v9
	s_wait_alu 0xfffe
	v_add_co_ci_u32_e64 v7, s2, 0, v7, s2
	v_lshl_or_b32 v11, v3, 12, v8
	v_cmp_gt_i32_e64 s4, 1, v3
	v_cmp_gt_i32_e64 s2, 31, v5
	v_cmp_ne_u32_e64 s3, 0, v8
	s_wait_alu 0xf1ff
	s_delay_alu instid0(VALU_DEP_3)
	v_cndmask_b32_e64 v9, v11, v9, s4
	s_wait_alu 0xfffd
	v_cndmask_b32_e64 v11, 0, 1, vcc_lo
	v_cndmask_b32_e64 v7, 0x7c00, v7, s2
	v_cmp_eq_u32_e32 vcc_lo, 0x40f, v5
	v_lshrrev_b32_e32 v8, 2, v9
	s_delay_alu instid0(VALU_DEP_4) | instskip(SKIP_1) | instid1(VALU_DEP_1)
	v_lshl_or_b32 v11, v11, 9, 0x7c00
	s_wait_alu 0xfffd
	v_cndmask_b32_e32 v5, v7, v11, vcc_lo
	v_and_b32_e32 v11, 7, v9
	v_cndmask_b32_e64 v9, 0, 1, s3
	v_lshrrev_b32_e32 v7, 16, v18
	s_delay_alu instid0(VALU_DEP_3) | instskip(SKIP_1) | instid1(VALU_DEP_4)
	v_cmp_lt_i32_e32 vcc_lo, 5, v11
	v_cmp_eq_u32_e64 s2, 3, v11
	v_lshl_or_b32 v9, v9, 9, 0x7c00
	s_delay_alu instid0(VALU_DEP_4) | instskip(NEXT) | instid1(VALU_DEP_3)
	v_and_or_b32 v5, 0x8000, v7, v5
	s_or_b32 vcc_lo, s2, vcc_lo
	s_wait_alu 0xfffe
	v_add_co_ci_u32_e32 v8, vcc_lo, 0, v8, vcc_lo
	v_cmp_gt_i32_e32 vcc_lo, 31, v3
	s_wait_alu 0xfffd
	s_delay_alu instid0(VALU_DEP_2) | instskip(SKIP_2) | instid1(VALU_DEP_2)
	v_cndmask_b32_e32 v8, 0x7c00, v8, vcc_lo
	v_cmp_eq_u32_e32 vcc_lo, 0x40f, v3
	s_wait_alu 0xfffd
	v_cndmask_b32_e32 v3, v8, v9, vcc_lo
	v_add_co_u32 v11, vcc_lo, v13, s6
	s_wait_alu 0xfffd
	v_add_co_ci_u32_e32 v12, vcc_lo, s7, v14, vcc_lo
	s_delay_alu instid0(VALU_DEP_3) | instskip(SKIP_1) | instid1(VALU_DEP_1)
	v_and_or_b32 v2, 0x8000, v2, v3
	v_and_b32_e32 v3, 0xffff, v5
	v_lshl_or_b32 v2, v2, 16, v3
	global_store_b32 v[13:14], v2, off
	v_cvt_f32_f16_e32 v2, v22
	v_lshrrev_b32_e32 v22, 16, v84
	s_delay_alu instid0(VALU_DEP_2) | instskip(NEXT) | instid1(VALU_DEP_1)
	v_cvt_f64_f32_e32 v[2:3], v2
	v_mul_f64_e32 v[13:14], s[10:11], v[2:3]
	s_delay_alu instid0(VALU_DEP_1) | instskip(SKIP_3) | instid1(VALU_DEP_4)
	v_and_or_b32 v2, 0x1ff, v14, v13
	v_lshrrev_b32_e32 v3, 8, v14
	v_bfe_u32 v7, v14, 20, 11
	v_lshrrev_b32_e32 v14, 16, v14
	v_cmp_ne_u32_e32 vcc_lo, 0, v2
	s_wait_alu 0xfffd
	v_cndmask_b32_e64 v2, 0, 1, vcc_lo
	s_delay_alu instid0(VALU_DEP_1) | instskip(SKIP_1) | instid1(VALU_DEP_2)
	v_and_or_b32 v5, 0xffe, v3, v2
	v_sub_nc_u32_e32 v2, 0x3f1, v7
	v_or_b32_e32 v3, 0x1000, v5
	s_delay_alu instid0(VALU_DEP_2) | instskip(NEXT) | instid1(VALU_DEP_1)
	v_med3_i32 v2, v2, 0, 13
	v_lshrrev_b32_e32 v13, v2, v3
	s_delay_alu instid0(VALU_DEP_1) | instskip(NEXT) | instid1(VALU_DEP_1)
	v_lshlrev_b32_e32 v2, v2, v13
	v_cmp_ne_u32_e32 vcc_lo, v2, v3
	v_mul_f16_e32 v2, v26, v19
	s_delay_alu instid0(VALU_DEP_1) | instskip(NEXT) | instid1(VALU_DEP_1)
	v_fmac_f16_e32 v2, v87, v0
	v_cvt_f32_f16_e32 v0, v2
	s_delay_alu instid0(VALU_DEP_1) | instskip(NEXT) | instid1(VALU_DEP_1)
	v_cvt_f64_f32_e32 v[2:3], v0
	v_mul_f64_e32 v[2:3], s[10:11], v[2:3]
	s_delay_alu instid0(VALU_DEP_1) | instskip(SKIP_1) | instid1(VALU_DEP_2)
	v_and_or_b32 v0, 0x1ff, v3, v2
	v_lshrrev_b32_e32 v2, 8, v3
	v_cmp_ne_u32_e64 s2, 0, v0
	s_wait_alu 0xf1ff
	s_delay_alu instid0(VALU_DEP_1) | instskip(NEXT) | instid1(VALU_DEP_1)
	v_cndmask_b32_e64 v0, 0, 1, s2
	v_and_or_b32 v0, 0xffe, v2, v0
	v_bfe_u32 v2, v3, 20, 11
	v_lshrrev_b32_e32 v3, 16, v3
	s_delay_alu instid0(VALU_DEP_3) | instskip(NEXT) | instid1(VALU_DEP_3)
	v_or_b32_e32 v9, 0x1000, v0
	v_sub_nc_u32_e32 v8, 0x3f1, v2
	v_add_nc_u32_e32 v2, 0xfffffc10, v2
	s_delay_alu instid0(VALU_DEP_2) | instskip(NEXT) | instid1(VALU_DEP_1)
	v_med3_i32 v8, v8, 0, 13
	v_lshrrev_b32_e32 v17, v8, v9
	s_delay_alu instid0(VALU_DEP_1) | instskip(NEXT) | instid1(VALU_DEP_1)
	v_lshlrev_b32_e32 v8, v8, v17
	v_cmp_ne_u32_e64 s2, v8, v9
	v_lshl_or_b32 v9, v2, 12, v0
	s_wait_alu 0xf1ff
	s_delay_alu instid0(VALU_DEP_2) | instskip(SKIP_1) | instid1(VALU_DEP_2)
	v_cndmask_b32_e64 v8, 0, 1, s2
	v_cmp_gt_i32_e64 s2, 1, v2
	v_or_b32_e32 v8, v17, v8
	s_wait_alu 0xf1ff
	s_delay_alu instid0(VALU_DEP_1) | instskip(SKIP_4) | instid1(VALU_DEP_2)
	v_cndmask_b32_e64 v17, v9, v8, s2
	ds_load_2addr_b32 v[8:9], v95 offset0:96 offset1:240
	s_wait_dscnt 0x0
	v_lshrrev_b32_e32 v18, 16, v8
	v_mul_f16_e32 v19, v22, v8
	v_mul_f16_e32 v22, v22, v18
	s_delay_alu instid0(VALU_DEP_2) | instskip(NEXT) | instid1(VALU_DEP_2)
	v_fma_f16 v18, v84, v18, -v19
	v_fmac_f16_e32 v22, v84, v8
	v_and_b32_e32 v8, 7, v17
	v_lshrrev_b32_e32 v17, 2, v17
	s_delay_alu instid0(VALU_DEP_2) | instskip(SKIP_4) | instid1(VALU_DEP_4)
	v_cmp_lt_i32_e64 s2, 5, v8
	v_cmp_eq_u32_e64 s3, 3, v8
	v_cndmask_b32_e64 v8, 0, 1, s1
	v_cmp_ne_u32_e64 s1, 0, v0
	v_add_nc_u32_e32 v0, 0xfffffc10, v20
	s_or_b32 s2, s3, s2
	s_delay_alu instid0(VALU_DEP_3)
	v_or_b32_e32 v8, v21, v8
	s_wait_alu 0xfffe
	v_add_co_ci_u32_e64 v17, s2, 0, v17, s2
	v_lshl_or_b32 v19, v0, 12, v15
	v_cmp_gt_i32_e64 s4, 1, v0
	v_cmp_gt_i32_e64 s2, 31, v2
	v_cmp_ne_u32_e64 s3, 0, v15
	s_wait_alu 0xf1ff
	s_delay_alu instid0(VALU_DEP_3) | instskip(SKIP_4) | instid1(VALU_DEP_4)
	v_cndmask_b32_e64 v8, v19, v8, s4
	v_cndmask_b32_e64 v19, 0, 1, s1
	;; [unrolled: 1-line block ×3, first 2 shown]
	v_cmp_eq_u32_e64 s1, 0x40f, v2
	v_cndmask_b32_e64 v15, 0, 1, s3
	v_lshl_or_b32 v19, v19, 9, 0x7c00
	s_delay_alu instid0(VALU_DEP_2) | instskip(SKIP_1) | instid1(VALU_DEP_2)
	v_lshl_or_b32 v15, v15, 9, 0x7c00
	s_wait_alu 0xf1ff
	v_cndmask_b32_e64 v2, v17, v19, s1
	v_and_b32_e32 v17, 7, v8
	v_lshrrev_b32_e32 v8, 2, v8
	s_delay_alu instid0(VALU_DEP_2) | instskip(SKIP_1) | instid1(VALU_DEP_1)
	v_cmp_lt_i32_e64 s1, 5, v17
	v_cmp_eq_u32_e64 s2, 3, v17
	s_or_b32 s1, s2, s1
	s_wait_alu 0xfffe
	v_add_co_ci_u32_e64 v8, s1, 0, v8, s1
	v_cmp_gt_i32_e64 s1, 31, v0
	s_wait_alu 0xf1ff
	s_delay_alu instid0(VALU_DEP_1) | instskip(SKIP_2) | instid1(VALU_DEP_1)
	v_cndmask_b32_e64 v8, 0x7c00, v8, s1
	v_cmp_eq_u32_e64 s1, 0x40f, v0
	s_wait_alu 0xf1ff
	v_cndmask_b32_e64 v0, v8, v15, s1
	v_cvt_f32_f16_e32 v15, v18
	v_lshrrev_b32_e32 v8, 16, v16
	v_and_or_b32 v16, 0x8000, v3, v2
	v_add_nc_u32_e32 v18, 0xfffffc10, v7
	s_delay_alu instid0(VALU_DEP_4) | instskip(NEXT) | instid1(VALU_DEP_4)
	v_cvt_f64_f32_e32 v[2:3], v15
	v_and_or_b32 v0, 0x8000, v8, v0
	s_delay_alu instid0(VALU_DEP_2) | instskip(NEXT) | instid1(VALU_DEP_1)
	v_mul_f64_e32 v[19:20], s[10:11], v[2:3]
	v_and_or_b32 v2, 0x1ff, v20, v19
	v_lshrrev_b32_e32 v3, 8, v20
	s_delay_alu instid0(VALU_DEP_2) | instskip(SKIP_1) | instid1(VALU_DEP_1)
	v_cmp_ne_u32_e64 s1, 0, v2
	s_wait_alu 0xf1ff
	v_cndmask_b32_e64 v2, 0, 1, s1
	s_delay_alu instid0(VALU_DEP_1) | instskip(SKIP_2) | instid1(VALU_DEP_2)
	v_and_or_b32 v26, 0xffe, v3, v2
	v_and_b32_e32 v2, 0xffff, v16
	v_lshrrev_b32_e32 v16, 16, v82
	v_lshl_or_b32 v0, v0, 16, v2
	ds_load_2addr_b32 v[2:3], v94 offset0:32 offset1:176
	global_store_b32 v[11:12], v0, off
	v_cndmask_b32_e64 v0, 0, 1, s0
	s_delay_alu instid0(VALU_DEP_1) | instskip(SKIP_4) | instid1(VALU_DEP_2)
	v_or_b32_e32 v0, v25, v0
	v_lshrrev_b32_e32 v25, 16, v85
	s_wait_dscnt 0x0
	v_lshrrev_b32_e32 v8, 16, v2
	v_mul_f16_e32 v15, v16, v2
	v_mul_f16_e32 v16, v16, v8
	s_delay_alu instid0(VALU_DEP_2) | instskip(NEXT) | instid1(VALU_DEP_2)
	v_fma_f16 v17, v82, v8, -v15
	v_fmac_f16_e32 v16, v82, v2
	v_add_nc_u32_e32 v2, 0xfffffc10, v24
	s_delay_alu instid0(VALU_DEP_2) | instskip(NEXT) | instid1(VALU_DEP_2)
	v_cvt_f32_f16_e32 v16, v16
	v_lshl_or_b32 v8, v2, 12, v23
	v_cmp_gt_i32_e64 s0, 1, v2
	s_wait_alu 0xf1ff
	s_delay_alu instid0(VALU_DEP_1) | instskip(SKIP_3) | instid1(VALU_DEP_2)
	v_cndmask_b32_e64 v0, v8, v0, s0
	s_wait_alu 0xfffd
	v_cndmask_b32_e64 v8, 0, 1, vcc_lo
	v_cmp_gt_i32_e32 vcc_lo, 1, v18
	v_or_b32_e32 v7, v13, v8
	v_lshl_or_b32 v8, v18, 12, v5
	s_wait_alu 0xfffd
	s_delay_alu instid0(VALU_DEP_1) | instskip(SKIP_3) | instid1(VALU_DEP_3)
	v_cndmask_b32_e32 v13, v8, v7, vcc_lo
	v_and_b32_e32 v7, 7, v0
	v_cvt_f32_f16_e32 v8, v22
	v_lshrrev_b32_e32 v0, 2, v0
	v_cmp_lt_i32_e32 vcc_lo, 5, v7
	v_cmp_eq_u32_e64 s0, 3, v7
	v_and_b32_e32 v7, 7, v13
	v_lshrrev_b32_e32 v13, 2, v13
	s_delay_alu instid0(VALU_DEP_3) | instskip(NEXT) | instid1(VALU_DEP_2)
	s_or_b32 vcc_lo, s0, vcc_lo
	v_cmp_lt_i32_e64 s1, 5, v7
	v_cmp_eq_u32_e64 s2, 3, v7
	v_cvt_f64_f32_e32 v[7:8], v8
	s_wait_alu 0xfffe
	v_add_co_ci_u32_e32 v0, vcc_lo, 0, v0, vcc_lo
	v_cmp_ne_u32_e32 vcc_lo, 0, v23
	v_bfe_u32 v23, v20, 20, 11
	v_lshrrev_b32_e32 v20, 16, v20
	s_wait_alu 0xfffd
	v_cndmask_b32_e64 v15, 0, 1, vcc_lo
	v_cmp_gt_i32_e32 vcc_lo, 31, v2
	s_delay_alu instid0(VALU_DEP_2)
	v_lshl_or_b32 v19, v15, 9, 0x7c00
	v_cvt_f64_f32_e32 v[15:16], v16
	s_wait_alu 0xfffd
	v_cndmask_b32_e32 v0, 0x7c00, v0, vcc_lo
	v_cmp_eq_u32_e32 vcc_lo, 0x40f, v2
	v_cvt_f32_f16_e32 v2, v17
	s_wait_alu 0xfffd
	s_delay_alu instid0(VALU_DEP_3) | instskip(SKIP_1) | instid1(VALU_DEP_1)
	v_cndmask_b32_e32 v0, v0, v19, vcc_lo
	s_or_b32 vcc_lo, s2, s1
	v_and_or_b32 v0, 0x8000, v10, v0
	s_delay_alu instid0(VALU_DEP_1)
	v_and_b32_e32 v0, 0xffff, v0
	v_mul_f64_e32 v[21:22], s[10:11], v[7:8]
	v_cvt_f64_f32_e32 v[7:8], v2
	s_wait_alu 0xfffe
	v_add_co_ci_u32_e32 v2, vcc_lo, 0, v13, vcc_lo
	v_cmp_ne_u32_e32 vcc_lo, 0, v5
	v_sub_nc_u32_e32 v13, 0x3f1, v23
	s_wait_alu 0xfffd
	v_cndmask_b32_e64 v5, 0, 1, vcc_lo
	v_cmp_gt_i32_e32 vcc_lo, 31, v18
	s_delay_alu instid0(VALU_DEP_3)
	v_med3_i32 v13, v13, 0, 13
	v_mul_f64_e32 v[16:17], s[10:11], v[15:16]
	s_wait_alu 0xfffd
	v_cndmask_b32_e32 v2, 0x7c00, v2, vcc_lo
	v_lshl_or_b32 v5, v5, 9, 0x7c00
	v_cmp_eq_u32_e32 vcc_lo, 0x40f, v18
	s_wait_alu 0xfffd
	s_delay_alu instid0(VALU_DEP_2) | instskip(SKIP_4) | instid1(VALU_DEP_3)
	v_cndmask_b32_e32 v2, v2, v5, vcc_lo
	v_or_b32_e32 v5, 0x1000, v26
	v_add_co_u32 v10, vcc_lo, v11, s6
	s_wait_alu 0xfffd
	v_add_co_ci_u32_e32 v11, vcc_lo, s7, v12, vcc_lo
	v_lshrrev_b32_e32 v15, v13, v5
	v_and_or_b32 v2, 0x8000, v14, v2
	s_delay_alu instid0(VALU_DEP_1)
	v_lshl_or_b32 v0, v2, 16, v0
	v_and_or_b32 v12, 0x1ff, v22, v21
	v_mul_f64_e32 v[18:19], s[10:11], v[7:8]
	v_lshrrev_b32_e32 v2, 8, v22
	v_bfe_u32 v21, v22, 20, 11
	global_store_b32 v[10:11], v0, off
	v_cmp_ne_u32_e32 vcc_lo, 0, v12
	v_lshlrev_b32_e32 v12, v13, v15
	v_lshrrev_b32_e32 v0, 16, v4
	ds_load_2addr_b32 v[7:8], v91 offset0:96 offset1:240
	v_lshrrev_b32_e32 v22, 16, v22
	s_wait_alu 0xfffd
	v_cndmask_b32_e64 v14, 0, 1, vcc_lo
	v_cmp_ne_u32_e32 vcc_lo, v12, v5
	v_add_co_u32 v12, s0, v10, s6
	s_wait_alu 0xf1ff
	v_add_co_ci_u32_e64 v13, s0, s7, v11, s0
	v_lshrrev_b32_e32 v11, 16, v81
	v_sub_nc_u32_e32 v10, 0x3f1, v21
	v_and_or_b32 v14, 0xffe, v2, v14
	v_add_nc_u32_e32 v21, 0xfffffc10, v21
	s_delay_alu instid0(VALU_DEP_4) | instskip(NEXT) | instid1(VALU_DEP_4)
	v_mul_f16_e32 v5, v11, v0
	v_med3_i32 v2, v10, 0, 13
	v_mul_f16_e32 v10, v11, v4
	s_delay_alu instid0(VALU_DEP_3) | instskip(SKIP_1) | instid1(VALU_DEP_3)
	v_fmac_f16_e32 v5, v81, v4
	v_or_b32_e32 v4, 0x1000, v14
	v_fma_f16 v0, v81, v0, -v10
	v_and_or_b32 v10, 0x1ff, v17, v16
	v_lshrrev_b32_e32 v16, 8, v17
	s_wait_dscnt 0x0
	v_mul_f16_e32 v24, v25, v7
	v_lshrrev_b32_e32 v11, v2, v4
	v_cvt_f32_f16_e32 v5, v5
	v_cmp_ne_u32_e64 s0, 0, v10
	v_cvt_f32_f16_e32 v0, v0
	s_delay_alu instid0(VALU_DEP_4) | instskip(SKIP_1) | instid1(VALU_DEP_3)
	v_lshlrev_b32_e32 v2, v2, v11
	s_wait_alu 0xf1ff
	v_cndmask_b32_e64 v10, 0, 1, s0
	s_delay_alu instid0(VALU_DEP_2) | instskip(SKIP_1) | instid1(VALU_DEP_3)
	v_cmp_ne_u32_e64 s0, v2, v4
	v_lshrrev_b32_e32 v4, 16, v7
	v_and_or_b32 v2, 0xffe, v16, v10
	v_and_or_b32 v10, 0x1ff, v19, v18
	s_delay_alu instid0(VALU_DEP_3)
	v_mul_f16_e32 v16, v25, v4
	v_fma_f16 v18, v85, v4, -v24
	s_wait_alu 0xf1ff
	v_cndmask_b32_e64 v4, 0, 1, s0
	v_cmp_ne_u32_e64 s0, 0, v10
	v_add_nc_u32_e32 v25, 0xfffffc10, v23
	v_fmac_f16_e32 v16, v85, v7
	s_wait_alu 0xfffd
	v_cndmask_b32_e64 v7, 0, 1, vcc_lo
	v_or_b32_e32 v4, v11, v4
	v_lshl_or_b32 v11, v21, 12, v14
	v_cmp_gt_i32_e32 vcc_lo, 1, v21
	s_wait_alu 0xf1ff
	v_cndmask_b32_e64 v10, 0, 1, s0
	v_or_b32_e32 v7, v15, v7
	v_lshl_or_b32 v15, v25, 12, v26
	s_wait_alu 0xfffd
	v_cndmask_b32_e32 v27, v11, v4, vcc_lo
	v_lshrrev_b32_e32 v4, 8, v19
	v_cvt_f32_f16_e32 v11, v16
	v_cvt_f32_f16_e32 v16, v18
	v_cmp_gt_i32_e32 vcc_lo, 1, v25
	s_delay_alu instid0(VALU_DEP_4) | instskip(NEXT) | instid1(VALU_DEP_4)
	v_and_or_b32 v4, 0xffe, v4, v10
	v_cvt_f64_f32_e32 v[10:11], v11
	s_delay_alu instid0(VALU_DEP_4) | instskip(SKIP_3) | instid1(VALU_DEP_1)
	v_cvt_f64_f32_e32 v[23:24], v16
	s_wait_alu 0xfffd
	v_cndmask_b32_e32 v7, v15, v7, vcc_lo
	v_and_b32_e32 v15, 7, v27
	v_cmp_lt_i32_e32 vcc_lo, 5, v15
	v_cmp_eq_u32_e64 s0, 3, v15
	s_delay_alu instid0(VALU_DEP_4) | instskip(SKIP_1) | instid1(VALU_DEP_3)
	v_and_b32_e32 v15, 7, v7
	v_lshrrev_b32_e32 v7, 2, v7
	s_or_b32 vcc_lo, s0, vcc_lo
	s_delay_alu instid0(VALU_DEP_2) | instskip(SKIP_4) | instid1(VALU_DEP_2)
	v_cmp_lt_i32_e64 s1, 5, v15
	v_cmp_eq_u32_e64 s2, 3, v15
	v_lshrrev_b32_e32 v15, 2, v27
	v_or_b32_e32 v27, 0x1000, v4
	s_wait_alu 0xfffe
	v_add_co_ci_u32_e32 v18, vcc_lo, 0, v15, vcc_lo
	v_cmp_ne_u32_e32 vcc_lo, 0, v14
	s_wait_alu 0xfffd
	v_cndmask_b32_e64 v14, 0, 1, vcc_lo
	v_cmp_gt_i32_e32 vcc_lo, 31, v21
	v_mul_f64_e32 v[15:16], s[10:11], v[10:11]
	s_wait_alu 0xfffd
	v_cndmask_b32_e32 v10, 0x7c00, v18, vcc_lo
	v_lshl_or_b32 v11, v14, 9, 0x7c00
	v_cmp_eq_u32_e32 vcc_lo, 0x40f, v21
	v_bfe_u32 v18, v17, 20, 11
	s_wait_alu 0xfffd
	s_delay_alu instid0(VALU_DEP_3)
	v_cndmask_b32_e32 v14, v10, v11, vcc_lo
	s_or_b32 vcc_lo, s2, s1
	v_mul_f64_e32 v[10:11], s[10:11], v[23:24]
	s_wait_alu 0xfffe
	v_add_co_ci_u32_e32 v7, vcc_lo, 0, v7, vcc_lo
	v_cmp_ne_u32_e32 vcc_lo, 0, v26
	v_and_or_b32 v14, 0x8000, v22, v14
	v_bfe_u32 v26, v19, 20, 11
	v_sub_nc_u32_e32 v23, 0x3f1, v18
	v_or_b32_e32 v22, 0x1000, v2
	s_wait_alu 0xfffd
	v_cndmask_b32_e64 v21, 0, 1, vcc_lo
	v_cmp_gt_i32_e32 vcc_lo, 31, v25
	v_and_b32_e32 v14, 0xffff, v14
	v_sub_nc_u32_e32 v24, 0x3f1, v26
	v_med3_i32 v23, v23, 0, 13
	v_lshl_or_b32 v21, v21, 9, 0x7c00
	s_wait_alu 0xfffd
	v_cndmask_b32_e32 v7, 0x7c00, v7, vcc_lo
	v_cmp_eq_u32_e32 vcc_lo, 0x40f, v25
	v_mul_f16_e32 v25, v28, v1
	v_med3_i32 v24, v24, 0, 13
	s_wait_alu 0xfffd
	v_dual_cndmask_b32 v7, v7, v21 :: v_dual_add_nc_u32 v26, 0xfffffc10, v26
	v_lshrrev_b32_e32 v21, 16, v1
	s_delay_alu instid0(VALU_DEP_2) | instskip(NEXT) | instid1(VALU_DEP_2)
	v_and_or_b32 v7, 0x8000, v20, v7
	v_fma_f16 v25, v83, v21, -v25
	v_mul_f16_e32 v28, v28, v21
	v_and_or_b32 v21, 0x1ff, v16, v15
	v_bfe_u32 v30, v16, 20, 11
	v_lshl_or_b32 v7, v7, 16, v14
	v_cvt_f32_f16_e32 v20, v25
	v_lshrrev_b32_e32 v25, v23, v22
	v_cmp_ne_u32_e32 vcc_lo, 0, v21
	v_fmac_f16_e32 v28, v83, v1
	v_lshrrev_b32_e32 v1, v24, v27
	v_cvt_f64_f32_e32 v[14:15], v20
	global_store_b32 v[12:13], v7, off
	v_and_or_b32 v10, 0x1ff, v11, v10
	s_wait_alu 0xfffd
	v_cndmask_b32_e64 v29, 0, 1, vcc_lo
	v_add_co_u32 v20, vcc_lo, v12, s6
	s_wait_alu 0xfffd
	v_add_co_ci_u32_e32 v21, vcc_lo, s7, v13, vcc_lo
	v_lshrrev_b32_e32 v7, 8, v16
	v_lshlrev_b32_e32 v12, v23, v25
	v_cmp_ne_u32_e32 vcc_lo, 0, v10
	v_lshlrev_b32_e32 v23, v24, v1
	v_add_nc_u32_e32 v10, 0xfffffc10, v18
	v_and_or_b32 v29, 0xffe, v7, v29
	v_lshrrev_b32_e32 v24, 8, v11
	s_wait_alu 0xfffd
	v_cndmask_b32_e64 v7, 0, 1, vcc_lo
	v_cmp_ne_u32_e32 vcc_lo, v12, v22
	v_cvt_f64_f32_e32 v[12:13], v5
	v_lshl_or_b32 v22, v10, 12, v2
	v_bfe_u32 v32, v11, 20, 11
	v_lshrrev_b32_e32 v16, 16, v16
	s_wait_alu 0xfffd
	v_cndmask_b32_e64 v5, 0, 1, vcc_lo
	v_cmp_ne_u32_e32 vcc_lo, v23, v27
	v_and_or_b32 v27, 0xffe, v24, v7
	v_sub_nc_u32_e32 v7, 0x3f1, v30
	v_lshrrev_b32_e32 v11, 16, v11
	v_or_b32_e32 v5, v25, v5
	s_wait_alu 0xfffd
	v_cndmask_b32_e64 v18, 0, 1, vcc_lo
	v_cmp_gt_i32_e32 vcc_lo, 1, v10
	v_med3_i32 v31, v7, 0, 13
	v_cvt_f32_f16_e32 v7, v28
	v_or_b32_e32 v33, 0x1000, v27
	v_or_b32_e32 v1, v1, v18
	v_lshl_or_b32 v18, v26, 12, v4
	s_wait_alu 0xfffd
	v_cndmask_b32_e32 v5, v22, v5, vcc_lo
	v_cmp_gt_i32_e32 vcc_lo, 1, v26
	v_cvt_f64_f32_e32 v[22:23], v0
	s_delay_alu instid0(VALU_DEP_3)
	v_and_b32_e32 v25, 7, v5
	s_wait_alu 0xfffd
	v_cndmask_b32_e32 v18, v18, v1, vcc_lo
	v_mul_f64_e32 v[0:1], s[10:11], v[14:15]
	v_lshrrev_b32_e32 v5, 2, v5
	v_cmp_lt_i32_e32 vcc_lo, 5, v25
	v_cmp_eq_u32_e64 s0, 3, v25
	v_and_b32_e32 v14, 7, v18
	v_cvt_f64_f32_e32 v[24:25], v7
	s_delay_alu instid0(VALU_DEP_3) | instskip(NEXT) | instid1(VALU_DEP_2)
	s_or_b32 vcc_lo, s0, vcc_lo
	v_cmp_lt_i32_e64 s1, 5, v14
	s_wait_alu 0xfffe
	v_add_co_ci_u32_e32 v5, vcc_lo, 0, v5, vcc_lo
	v_cmp_ne_u32_e32 vcc_lo, 0, v2
	v_cmp_eq_u32_e64 s2, 3, v14
	v_lshrrev_b32_e32 v14, 2, v18
	v_mul_f64_e32 v[12:13], s[10:11], v[12:13]
	v_lshrrev_b32_e32 v18, 16, v19
	s_wait_alu 0xfffd
	v_cndmask_b32_e64 v2, 0, 1, vcc_lo
	v_cmp_gt_i32_e32 vcc_lo, 31, v10
	s_or_b32 s0, s2, s1
	v_sub_nc_u32_e32 v19, 0x3f1, v32
	s_wait_alu 0xfffe
	v_add_co_ci_u32_e64 v7, s0, 0, v14, s0
	s_wait_alu 0xfffd
	v_cndmask_b32_e32 v5, 0x7c00, v5, vcc_lo
	v_lshl_or_b32 v2, v2, 9, 0x7c00
	v_cmp_eq_u32_e32 vcc_lo, 0x40f, v10
	v_cmp_ne_u32_e64 s0, 0, v4
	v_lshrrev_b32_e32 v10, 16, v6
	v_med3_i32 v28, v19, 0, 13
	s_wait_alu 0xfffd
	v_cndmask_b32_e32 v5, v5, v2, vcc_lo
	s_wait_alu 0xf1ff
	v_cndmask_b32_e64 v4, 0, 1, s0
	v_cmp_gt_i32_e32 vcc_lo, 31, v26
	v_mul_f64_e32 v[14:15], s[10:11], v[22:23]
	s_delay_alu instid0(VALU_DEP_3)
	v_lshl_or_b32 v4, v4, 9, 0x7c00
	s_wait_alu 0xfffd
	v_cndmask_b32_e32 v2, 0x7c00, v7, vcc_lo
	v_and_or_b32 v0, 0x1ff, v1, v0
	v_cmp_eq_u32_e32 vcc_lo, 0x40f, v26
	v_lshrrev_b32_e32 v7, 16, v17
	v_lshrrev_b32_e32 v17, 8, v1
	v_or_b32_e32 v26, 0x1000, v29
	s_wait_alu 0xfffd
	v_cndmask_b32_e32 v4, v2, v4, vcc_lo
	v_cmp_ne_u32_e32 vcc_lo, 0, v0
	v_bfe_u32 v2, v1, 20, 11
	v_and_or_b32 v5, 0x8000, v7, v5
	v_lshrrev_b32_e32 v1, 16, v1
	v_and_or_b32 v4, 0x8000, v18, v4
	s_wait_alu 0xfffd
	v_cndmask_b32_e64 v0, 0, 1, vcc_lo
	v_sub_nc_u32_e32 v7, 0x3f1, v2
	v_and_b32_e32 v5, 0xffff, v5
	v_and_or_b32 v12, 0x1ff, v13, v12
	v_add_nc_u32_e32 v2, 0xfffffc10, v2
	v_and_or_b32 v0, 0xffe, v17, v0
	v_lshrrev_b32_e32 v17, 16, v90
	v_med3_i32 v7, v7, 0, 13
	v_cmp_ne_u32_e64 s0, 0, v12
	s_delay_alu instid0(VALU_DEP_4) | instskip(NEXT) | instid1(VALU_DEP_4)
	v_or_b32_e32 v18, 0x1000, v0
	v_mul_f16_e32 v22, v17, v10
	v_mul_f16_e32 v23, v17, v6
	s_delay_alu instid0(VALU_DEP_3) | instskip(NEXT) | instid1(VALU_DEP_3)
	v_lshrrev_b32_e32 v17, v7, v18
	v_fmac_f16_e32 v22, v90, v6
	v_lshl_or_b32 v6, v4, 16, v5
	v_mul_f64_e32 v[4:5], s[10:11], v[24:25]
	v_fma_f16 v19, v90, v10, -v23
	v_lshlrev_b32_e32 v10, v7, v17
	v_lshrrev_b32_e32 v23, 16, v9
	global_store_b32 v[20:21], v6, off
	v_add_co_u32 v6, vcc_lo, v20, s6
	s_wait_alu 0xfffd
	v_add_co_ci_u32_e32 v7, vcc_lo, s7, v21, vcc_lo
	v_cmp_ne_u32_e32 vcc_lo, v10, v18
	v_lshrrev_b32_e32 v18, 16, v86
	v_and_or_b32 v12, 0x1ff, v15, v14
	v_lshrrev_b32_e32 v21, v31, v26
	s_wait_alu 0xf1ff
	v_cndmask_b32_e64 v10, 0, 1, s0
	v_lshrrev_b32_e32 v24, v28, v33
	v_mul_f16_e32 v20, v18, v23
	v_mul_f16_e32 v25, v18, v9
	v_cmp_ne_u32_e64 s0, 0, v12
	v_lshlrev_b32_e32 v14, v31, v21
	v_cvt_f32_f16_e32 v12, v22
	v_fmac_f16_e32 v20, v86, v9
	v_lshrrev_b32_e32 v9, 8, v13
	v_lshlrev_b32_e32 v28, v28, v24
	v_fma_f16 v25, v86, v23, -v25
	v_lshrrev_b32_e32 v23, 16, v3
	v_bfe_u32 v31, v15, 20, 11
	v_and_or_b32 v18, 0xffe, v9, v10
	s_wait_alu 0xf1ff
	v_cndmask_b32_e64 v9, 0, 1, s0
	v_lshrrev_b32_e32 v10, 8, v15
	v_cmp_ne_u32_e64 s0, v14, v26
	v_add_nc_u32_e32 v26, 0xfffffc10, v30
	v_bfe_u32 v30, v13, 20, 11
	v_cvt_f32_f16_e32 v19, v19
	v_and_or_b32 v14, 0xffe, v10, v9
	v_cvt_f64_f32_e32 v[9:10], v12
	s_wait_alu 0xf1ff
	v_cndmask_b32_e64 v22, 0, 1, s0
	v_cmp_ne_u32_e64 s0, v28, v33
	v_add_nc_u32_e32 v28, 0xfffffc10, v32
	v_and_or_b32 v4, 0x1ff, v5, v4
	v_sub_nc_u32_e32 v32, 0x3f1, v31
	v_or_b32_e32 v12, v21, v22
	v_lshl_or_b32 v21, v26, 12, v29
	s_wait_alu 0xf1ff
	v_cndmask_b32_e64 v22, 0, 1, s0
	v_cmp_gt_i32_e64 s0, 1, v26
	v_med3_i32 v32, v32, 0, 13
	v_or_b32_e32 v33, 0x1000, v14
	v_lshrrev_b32_e32 v13, 16, v13
	s_wait_alu 0xf1ff
	v_cndmask_b32_e64 v12, v21, v12, s0
	v_cmp_ne_u32_e64 s0, 0, v4
	v_or_b32_e32 v21, v24, v22
	v_lshl_or_b32 v22, v28, 12, v27
	v_lshrrev_b32_e32 v24, 8, v5
	v_lshrrev_b32_e32 v36, v32, v33
	s_wait_alu 0xf1ff
	v_cndmask_b32_e64 v4, 0, 1, s0
	v_cmp_gt_i32_e64 s0, 1, v28
	s_delay_alu instid0(VALU_DEP_2) | instskip(SKIP_1) | instid1(VALU_DEP_2)
	v_and_or_b32 v4, 0xffe, v24, v4
	s_wait_alu 0xf1ff
	v_cndmask_b32_e64 v21, v22, v21, s0
	v_and_b32_e32 v22, 7, v12
	v_lshrrev_b32_e32 v12, 2, v12
	v_sub_nc_u32_e32 v24, 0x3f1, v30
	v_or_b32_e32 v35, 0x1000, v4
	s_delay_alu instid0(VALU_DEP_4) | instskip(SKIP_4) | instid1(VALU_DEP_4)
	v_cmp_lt_i32_e64 s0, 5, v22
	v_cmp_eq_u32_e64 s1, 3, v22
	v_and_b32_e32 v22, 7, v21
	v_lshrrev_b32_e32 v21, 2, v21
	v_med3_i32 v24, v24, 0, 13
	s_or_b32 s0, s1, s0
	v_mul_f64_e32 v[9:10], s[10:11], v[9:10]
	s_wait_alu 0xfffe
	v_add_co_ci_u32_e64 v12, s0, 0, v12, s0
	v_cmp_ne_u32_e64 s0, 0, v29
	v_cmp_lt_i32_e64 s2, 5, v22
	v_cmp_eq_u32_e64 s3, 3, v22
	v_or_b32_e32 v29, 0x1000, v18
	s_wait_alu 0xf1ff
	v_cndmask_b32_e64 v22, 0, 1, s0
	v_cmp_gt_i32_e64 s0, 31, v26
	s_delay_alu instid0(VALU_DEP_2) | instskip(SKIP_1) | instid1(VALU_DEP_2)
	v_lshl_or_b32 v22, v22, 9, 0x7c00
	s_wait_alu 0xf1ff
	v_cndmask_b32_e64 v12, 0x7c00, v12, s0
	v_cmp_eq_u32_e64 s0, 0x40f, v26
	v_lshrrev_b32_e32 v26, v24, v29
	s_wait_alu 0xf1ff
	s_delay_alu instid0(VALU_DEP_2) | instskip(SKIP_1) | instid1(VALU_DEP_2)
	v_cndmask_b32_e64 v22, v12, v22, s0
	s_or_b32 s0, s3, s2
	v_lshlrev_b32_e32 v24, v24, v26
	s_wait_alu 0xfffe
	v_add_co_ci_u32_e64 v21, s0, 0, v21, s0
	v_cmp_ne_u32_e64 s0, 0, v27
	v_bfe_u32 v12, v5, 20, 11
	v_lshrrev_b32_e32 v5, 16, v5
	s_wait_alu 0xf1ff
	s_delay_alu instid0(VALU_DEP_3) | instskip(SKIP_1) | instid1(VALU_DEP_2)
	v_cndmask_b32_e64 v27, 0, 1, s0
	v_cmp_gt_i32_e64 s0, 31, v28
	v_lshl_or_b32 v27, v27, 9, 0x7c00
	s_wait_alu 0xf1ff
	s_delay_alu instid0(VALU_DEP_2)
	v_cndmask_b32_e64 v21, 0x7c00, v21, s0
	v_cmp_eq_u32_e64 s0, 0x40f, v28
	v_and_or_b32 v9, 0x1ff, v10, v9
	v_sub_nc_u32_e32 v28, 0x3f1, v12
	v_bfe_u32 v38, v10, 20, 11
	v_add_nc_u32_e32 v12, 0xfffffc10, v12
	s_wait_alu 0xf1ff
	v_cndmask_b32_e64 v21, v21, v27, s0
	v_mul_f16_e32 v27, v34, v23
	v_mul_f16_e32 v34, v34, v3
	v_cmp_ne_u32_e64 s0, 0, v9
	v_med3_i32 v28, v28, 0, 13
	v_and_or_b32 v11, 0x8000, v11, v21
	v_fmac_f16_e32 v27, v101, v3
	v_and_or_b32 v3, 0x8000, v16, v22
	v_cvt_f32_f16_e32 v16, v20
	s_wait_alu 0xf1ff
	v_cndmask_b32_e64 v9, 0, 1, s0
	v_cmp_ne_u32_e64 s0, v24, v29
	v_lshlrev_b32_e32 v22, v32, v36
	v_and_b32_e32 v3, 0xffff, v3
	v_cvt_f64_f32_e32 v[20:21], v16
	v_lshrrev_b32_e32 v16, 8, v10
	v_lshrrev_b32_e32 v37, v28, v35
	v_fma_f16 v29, v101, v23, -v34
	v_lshl_or_b32 v11, v11, 16, v3
	v_sub_nc_u32_e32 v24, 0x3f1, v38
	v_and_or_b32 v3, 0xffe, v16, v9
	s_wait_alu 0xf1ff
	v_cndmask_b32_e64 v9, 0, 1, s0
	v_add_nc_u32_e32 v16, 0xfffffc10, v30
	v_cmp_ne_u32_e64 s0, v22, v33
	v_lshlrev_b32_e32 v32, v28, v37
	v_add_nc_u32_e32 v33, 0xfffffc10, v31
	v_or_b32_e32 v9, v26, v9
	v_lshl_or_b32 v26, v16, 12, v18
	s_wait_alu 0xf1ff
	v_cndmask_b32_e64 v22, 0, 1, s0
	v_cmp_gt_i32_e64 s0, 1, v16
	v_lshl_or_b32 v31, v33, 12, v14
	v_lshrrev_b32_e32 v30, 16, v8
	v_lshrrev_b32_e32 v34, 16, v93
	v_or_b32_e32 v28, v36, v22
	v_cvt_f64_f32_e32 v[22:23], v19
	s_wait_alu 0xf1ff
	v_cndmask_b32_e64 v19, v26, v9, s0
	v_cvt_f32_f16_e32 v9, v25
	v_cmp_gt_i32_e64 s0, 1, v33
	v_med3_i32 v36, v24, 0, 13
	v_cvt_f32_f16_e32 v24, v27
	v_and_b32_e32 v25, 7, v19
	v_mul_f16_e32 v26, v34, v30
	s_wait_alu 0xf1ff
	v_cndmask_b32_e64 v31, v31, v28, s0
	v_lshrrev_b32_e32 v27, 2, v19
	v_mul_f16_e32 v28, v34, v8
	v_cmp_lt_i32_e64 s0, 5, v25
	v_cmp_eq_u32_e64 s1, 3, v25
	v_cvt_f64_f32_e32 v[24:25], v24
	v_fmac_f16_e32 v26, v93, v8
	v_cvt_f64_f32_e32 v[8:9], v9
	v_and_b32_e32 v34, 7, v31
	s_or_b32 s0, s1, s0
	v_mul_f64_e32 v[19:20], s[10:11], v[20:21]
	s_wait_alu 0xfffe
	v_add_co_ci_u32_e64 v21, s0, 0, v27, s0
	v_cvt_f32_f16_e32 v27, v29
	v_cmp_ne_u32_e64 s0, 0, v18
	v_cvt_f32_f16_e32 v29, v26
	v_cmp_lt_i32_e64 s2, 5, v34
	v_cmp_eq_u32_e64 s3, 3, v34
	v_cvt_f64_f32_e32 v[26:27], v27
	s_wait_alu 0xf1ff
	v_cndmask_b32_e64 v18, 0, 1, s0
	v_cmp_gt_i32_e64 s0, 31, v16
	v_fma_f16 v30, v93, v30, -v28
	v_cvt_f64_f32_e32 v[28:29], v29
	v_cmp_gt_i32_e64 s1, 31, v33
	v_lshl_or_b32 v18, v18, 9, 0x7c00
	s_wait_alu 0xf1ff
	v_cndmask_b32_e64 v34, 0x7c00, v21, s0
	v_lshrrev_b32_e32 v21, 2, v31
	v_cvt_f32_f16_e32 v30, v30
	s_or_b32 s0, s3, s2
	v_or_b32_e32 v40, 0x1000, v3
	global_store_b32 v[6:7], v11, off
	s_wait_alu 0xfffe
	v_add_co_ci_u32_e64 v39, s0, 0, v21, s0
	v_cmp_ne_u32_e64 s0, 0, v14
	v_cvt_f64_f32_e32 v[30:31], v30
	v_mul_f64_e32 v[21:22], s[10:11], v[22:23]
	v_lshrrev_b32_e32 v10, 16, v10
	s_wait_alu 0xf1ff
	v_cndmask_b32_e64 v14, 0, 1, s0
	v_cmp_eq_u32_e64 s0, 0x40f, v16
	v_cndmask_b32_e64 v16, 0x7c00, v39, s1
	s_delay_alu instid0(VALU_DEP_3) | instskip(SKIP_1) | instid1(VALU_DEP_3)
	v_lshl_or_b32 v14, v14, 9, 0x7c00
	s_wait_alu 0xf1ff
	v_cndmask_b32_e64 v18, v34, v18, s0
	v_cmp_eq_u32_e64 s0, 0x40f, v33
	v_mul_f64_e32 v[8:9], s[10:11], v[8:9]
	v_lshrrev_b32_e32 v34, v36, v40
	v_and_or_b32 v19, 0x1ff, v20, v19
	v_and_or_b32 v18, 0x8000, v13, v18
	s_wait_alu 0xf1ff
	v_cndmask_b32_e64 v23, v16, v14, s0
	v_mul_f64_e32 v[13:14], s[10:11], v[24:25]
	v_lshrrev_b32_e32 v33, 16, v15
	v_add_co_u32 v15, s0, v6, s8
	s_wait_alu 0xf1ff
	v_add_co_ci_u32_e64 v16, s0, s9, v7, s0
	v_lshlrev_b32_e32 v25, v36, v34
	v_and_b32_e32 v36, 0xffff, v18
	v_cmp_ne_u32_e64 s0, 0, v19
	v_mul_f64_e32 v[18:19], s[10:11], v[26:27]
	v_bfe_u32 v41, v20, 20, 11
	v_and_or_b32 v33, 0x8000, v33, v23
	v_mul_f64_e32 v[23:24], s[10:11], v[28:29]
	s_wait_alu 0xf1ff
	v_cndmask_b32_e64 v39, 0, 1, s0
	v_cmp_ne_u32_e64 s0, v25, v40
	v_sub_nc_u32_e32 v6, 0x3f1, v41
	v_lshrrev_b32_e32 v26, 8, v20
	v_lshl_or_b32 v27, v33, 16, v36
	v_add_nc_u32_e32 v36, 0xfffffc10, v41
	v_lshrrev_b32_e32 v20, 16, v20
	v_med3_i32 v25, v6, 0, 13
	v_mul_f64_e32 v[6:7], s[10:11], v[30:31]
	v_and_or_b32 v11, 0xffe, v26, v39
	v_and_or_b32 v21, 0x1ff, v22, v21
	global_store_b32 v[15:16], v27, off
	v_add_co_u32 v15, s1, v15, s6
	v_or_b32_e32 v26, 0x1000, v11
	s_wait_alu 0xf1ff
	v_add_co_ci_u32_e64 v16, s1, s7, v16, s1
	v_cmp_ne_u32_e64 s1, 0, v21
	v_lshrrev_b32_e32 v28, 8, v22
	v_lshrrev_b32_e32 v27, v25, v26
	v_and_or_b32 v8, 0x1ff, v9, v8
	v_lshrrev_b32_e32 v30, 8, v9
	s_wait_alu 0xf1ff
	v_cndmask_b32_e64 v21, 0, 1, s1
	v_bfe_u32 v29, v22, 20, 11
	v_lshlrev_b32_e32 v25, v25, v27
	v_and_or_b32 v13, 0x1ff, v14, v13
	v_cmp_ne_u32_e64 s1, 0, v8
	v_and_or_b32 v21, 0xffe, v28, v21
	v_sub_nc_u32_e32 v28, 0x3f1, v29
	v_cndmask_b32_e64 v31, 0, 1, s0
	v_cmp_ne_u32_e64 s2, 0, v13
	s_wait_alu 0xf1ff
	v_cndmask_b32_e64 v8, 0, 1, s1
	v_cmp_ne_u32_e64 s1, v25, v26
	v_lshrrev_b32_e32 v25, 8, v14
	v_and_or_b32 v18, 0x1ff, v19, v18
	v_cndmask_b32_e64 v13, 0, 1, s2
	v_cmp_ne_u32_e64 s2, v32, v35
	v_and_or_b32 v23, 0x1ff, v24, v23
	v_and_or_b32 v8, 0xffe, v30, v8
	v_lshrrev_b32_e32 v30, 8, v19
	v_and_or_b32 v13, 0xffe, v25, v13
	s_wait_alu 0xf1ff
	v_cndmask_b32_e64 v26, 0, 1, s2
	v_cmp_ne_u32_e64 s2, 0, v18
	v_med3_i32 v28, v28, 0, 13
	v_add_nc_u32_e32 v32, 0xfffffc10, v38
	v_or_b32_e32 v31, v34, v31
	v_or_b32_e32 v25, v37, v26
	v_lshl_or_b32 v26, v12, 12, v4
	s_wait_alu 0xf1ff
	v_cndmask_b32_e64 v18, 0, 1, s2
	v_cmp_gt_i32_e64 s2, 1, v12
	v_and_or_b32 v6, 0x1ff, v7, v6
	v_lshl_or_b32 v33, v32, 12, v3
	v_cndmask_b32_e64 v35, 0, 1, s1
	v_and_or_b32 v18, 0xffe, v30, v18
	s_wait_alu 0xf1ff
	v_cndmask_b32_e64 v25, v26, v25, s2
	v_cmp_ne_u32_e64 s2, 0, v23
	v_lshrrev_b32_e32 v26, 8, v24
	v_or_b32_e32 v27, v27, v35
	v_lshl_or_b32 v35, v36, 12, v11
	v_and_b32_e32 v30, 7, v25
	s_wait_alu 0xf1ff
	v_cndmask_b32_e64 v23, 0, 1, s2
	v_cmp_ne_u32_e64 s2, 0, v6
	v_lshrrev_b32_e32 v25, 2, v25
	v_or_b32_e32 v34, 0x1000, v13
	v_lshrrev_b32_e32 v22, 16, v22
	v_and_or_b32 v23, 0xffe, v26, v23
	s_wait_alu 0xf1ff
	v_cndmask_b32_e64 v6, 0, 1, s2
	v_cmp_lt_i32_e64 s2, 5, v30
	s_wait_alu 0xfffd
	v_cndmask_b32_e64 v26, 0, 1, vcc_lo
	v_cmp_eq_u32_e32 vcc_lo, 3, v30
	v_lshrrev_b32_e32 v30, 8, v7
	s_delay_alu instid0(VALU_DEP_3)
	v_or_b32_e32 v17, v17, v26
	s_or_b32 vcc_lo, vcc_lo, s2
	v_lshl_or_b32 v26, v2, 12, v0
	s_wait_alu 0xfffe
	v_add_co_ci_u32_e32 v25, vcc_lo, 0, v25, vcc_lo
	v_cmp_ne_u32_e32 vcc_lo, 0, v4
	v_and_or_b32 v6, 0xffe, v30, v6
	s_wait_alu 0xfffd
	v_cndmask_b32_e64 v4, 0, 1, vcc_lo
	v_cmp_gt_i32_e32 vcc_lo, 1, v2
	s_delay_alu instid0(VALU_DEP_2) | instskip(SKIP_4) | instid1(VALU_DEP_3)
	v_lshl_or_b32 v4, v4, 9, 0x7c00
	s_wait_alu 0xfffd
	v_cndmask_b32_e32 v17, v26, v17, vcc_lo
	v_cmp_gt_i32_e32 vcc_lo, 31, v12
	v_or_b32_e32 v26, 0x1000, v21
	v_and_b32_e32 v30, 7, v17
	s_wait_alu 0xfffd
	v_cndmask_b32_e32 v25, 0x7c00, v25, vcc_lo
	v_cmp_eq_u32_e32 vcc_lo, 0x40f, v12
	v_lshrrev_b32_e32 v17, 2, v17
	v_bfe_u32 v12, v9, 20, 11
	v_cmp_eq_u32_e64 s2, 3, v30
	v_lshrrev_b32_e32 v9, 16, v9
	s_wait_alu 0xfffd
	v_cndmask_b32_e32 v4, v25, v4, vcc_lo
	v_cmp_lt_i32_e32 vcc_lo, 5, v30
	v_lshrrev_b32_e32 v25, v28, v26
	v_sub_nc_u32_e32 v30, 0x3f1, v12
	v_add_nc_u32_e32 v12, 0xfffffc10, v12
	v_and_or_b32 v4, 0x8000, v5, v4
	s_or_b32 vcc_lo, s2, vcc_lo
	v_lshlrev_b32_e32 v28, v28, v25
	s_wait_alu 0xfffe
	v_add_co_ci_u32_e32 v17, vcc_lo, 0, v17, vcc_lo
	v_cmp_ne_u32_e32 vcc_lo, 0, v0
	v_med3_i32 v30, v30, 0, 13
	v_cmp_gt_i32_e64 s1, 1, v12
	v_and_b32_e32 v4, 0xffff, v4
	s_wait_alu 0xfffd
	v_cndmask_b32_e64 v0, 0, 1, vcc_lo
	v_cmp_gt_i32_e32 vcc_lo, 31, v2
	s_delay_alu instid0(VALU_DEP_2)
	v_lshl_or_b32 v0, v0, 9, 0x7c00
	s_wait_alu 0xfffd
	v_cndmask_b32_e32 v17, 0x7c00, v17, vcc_lo
	v_cmp_eq_u32_e32 vcc_lo, 0x40f, v2
	v_or_b32_e32 v2, 0x1000, v8
	s_wait_alu 0xfffd
	s_delay_alu instid0(VALU_DEP_3) | instskip(SKIP_2) | instid1(VALU_DEP_3)
	v_cndmask_b32_e32 v0, v17, v0, vcc_lo
	v_cmp_gt_i32_e32 vcc_lo, 1, v32
	v_bfe_u32 v17, v14, 20, 11
	v_and_or_b32 v0, 0x8000, v1, v0
	s_wait_alu 0xfffd
	v_cndmask_b32_e32 v31, v33, v31, vcc_lo
	v_cmp_ne_u32_e32 vcc_lo, v28, v26
	v_add_nc_u32_e32 v28, 0xfffffc10, v29
	v_lshrrev_b32_e32 v33, v30, v2
	v_sub_nc_u32_e32 v29, 0x3f1, v17
	v_add_nc_u32_e32 v17, 0xfffffc10, v17
	s_wait_alu 0xfffd
	v_cndmask_b32_e64 v26, 0, 1, vcc_lo
	v_cmp_gt_i32_e32 vcc_lo, 1, v28
	v_lshlrev_b32_e32 v30, v30, v33
	v_med3_i32 v29, v29, 0, 13
	v_lshl_or_b32 v38, v0, 16, v4
	v_or_b32_e32 v25, v25, v26
	v_lshl_or_b32 v26, v28, 12, v21
	v_or_b32_e32 v0, 0x1000, v23
	v_lshrrev_b32_e32 v5, v29, v34
	s_wait_alu 0xfffd
	s_delay_alu instid0(VALU_DEP_3) | instskip(SKIP_1) | instid1(VALU_DEP_3)
	v_dual_cndmask_b32 v25, v26, v25 :: v_dual_and_b32 v26, 7, v31
	v_lshrrev_b32_e32 v31, 2, v31
	v_lshlrev_b32_e32 v29, v29, v5
	s_delay_alu instid0(VALU_DEP_3) | instskip(NEXT) | instid1(VALU_DEP_4)
	v_and_b32_e32 v1, 7, v25
	v_cmp_lt_i32_e32 vcc_lo, 5, v26
	v_cmp_eq_u32_e64 s0, 3, v26
	v_lshrrev_b32_e32 v25, 2, v25
	v_bfe_u32 v26, v19, 20, 11
	v_cmp_lt_i32_e64 s2, 5, v1
	v_cmp_eq_u32_e64 s3, 3, v1
	s_or_b32 vcc_lo, s0, vcc_lo
	s_wait_alu 0xfffe
	v_add_co_ci_u32_e32 v1, vcc_lo, 0, v31, vcc_lo
	v_cmp_ne_u32_e32 vcc_lo, 0, v3
	v_sub_nc_u32_e32 v31, 0x3f1, v26
	s_wait_alu 0xfffd
	v_cndmask_b32_e64 v3, 0, 1, vcc_lo
	v_cmp_gt_i32_e32 vcc_lo, 31, v32
	s_delay_alu instid0(VALU_DEP_3) | instskip(NEXT) | instid1(VALU_DEP_3)
	v_med3_i32 v31, v31, 0, 13
	v_lshl_or_b32 v3, v3, 9, 0x7c00
	s_wait_alu 0xfffd
	v_cndmask_b32_e32 v1, 0x7c00, v1, vcc_lo
	v_cmp_eq_u32_e32 vcc_lo, 0x40f, v32
	v_or_b32_e32 v32, 0x1000, v18
	s_wait_alu 0xfffd
	s_delay_alu instid0(VALU_DEP_3)
	v_cndmask_b32_e32 v1, v1, v3, vcc_lo
	s_or_b32 vcc_lo, s3, s2
	s_wait_alu 0xfffe
	v_add_co_ci_u32_e32 v3, vcc_lo, 0, v25, vcc_lo
	v_cmp_ne_u32_e32 vcc_lo, 0, v21
	v_lshrrev_b32_e32 v25, v31, v32
	v_and_or_b32 v1, 0x8000, v10, v1
	v_or_b32_e32 v10, 0x1000, v6
	s_wait_alu 0xfffd
	v_cndmask_b32_e64 v21, 0, 1, vcc_lo
	v_cmp_gt_i32_e32 vcc_lo, 31, v28
	v_lshlrev_b32_e32 v31, v31, v25
	v_and_b32_e32 v1, 0xffff, v1
	s_delay_alu instid0(VALU_DEP_4)
	v_lshl_or_b32 v21, v21, 9, 0x7c00
	s_wait_alu 0xfffd
	v_cndmask_b32_e32 v3, 0x7c00, v3, vcc_lo
	v_cmp_eq_u32_e32 vcc_lo, 0x40f, v28
	v_bfe_u32 v28, v24, 20, 11
	s_wait_alu 0xfffd
	s_delay_alu instid0(VALU_DEP_3) | instskip(SKIP_1) | instid1(VALU_DEP_3)
	v_cndmask_b32_e32 v3, v3, v21, vcc_lo
	v_cmp_gt_i32_e32 vcc_lo, 1, v36
	v_sub_nc_u32_e32 v37, 0x3f1, v28
	v_bfe_u32 v21, v7, 20, 11
	s_delay_alu instid0(VALU_DEP_4)
	v_and_or_b32 v3, 0x8000, v22, v3
	s_wait_alu 0xfffd
	v_cndmask_b32_e32 v27, v35, v27, vcc_lo
	v_cmp_ne_u32_e32 vcc_lo, v30, v2
	v_med3_i32 v37, v37, 0, 13
	v_sub_nc_u32_e32 v35, 0x3f1, v21
	s_delay_alu instid0(VALU_DEP_4)
	v_and_b32_e32 v2, 7, v27
	s_wait_alu 0xfffd
	v_cndmask_b32_e64 v30, 0, 1, vcc_lo
	v_lshrrev_b32_e32 v27, 2, v27
	v_med3_i32 v4, v35, 0, 13
	v_cmp_lt_i32_e32 vcc_lo, 5, v2
	v_cmp_eq_u32_e64 s0, 3, v2
	v_or_b32_e32 v30, v33, v30
	v_lshl_or_b32 v33, v12, 12, v8
	v_lshrrev_b32_e32 v2, v37, v0
	s_delay_alu instid0(VALU_DEP_4)
	s_or_b32 vcc_lo, s0, vcc_lo
	s_wait_alu 0xfffe
	v_add_co_ci_u32_e32 v27, vcc_lo, 0, v27, vcc_lo
	v_cmp_gt_i32_e32 vcc_lo, 31, v36
	v_cndmask_b32_e64 v30, v33, v30, s1
	v_cmp_gt_i32_e64 s1, 1, v17
	v_lshlrev_b32_e32 v35, v37, v2
	v_lshrrev_b32_e32 v33, v4, v10
	s_wait_alu 0xfffd
	v_cndmask_b32_e32 v22, 0x7c00, v27, vcc_lo
	v_cmp_ne_u32_e32 vcc_lo, v29, v34
	v_and_b32_e32 v27, 7, v30
	v_lshlrev_b32_e32 v4, v4, v33
	s_wait_alu 0xfffd
	v_cndmask_b32_e64 v29, 0, 1, vcc_lo
	v_cmp_ne_u32_e32 vcc_lo, 0, v11
	v_cmp_eq_u32_e64 s0, 3, v27
	s_delay_alu instid0(VALU_DEP_3)
	v_or_b32_e32 v5, v5, v29
	s_wait_alu 0xfffd
	v_cndmask_b32_e64 v11, 0, 1, vcc_lo
	v_cmp_lt_i32_e32 vcc_lo, 5, v27
	v_lshrrev_b32_e32 v27, 2, v30
	v_lshl_or_b32 v29, v17, 12, v13
	s_delay_alu instid0(VALU_DEP_4)
	v_lshl_or_b32 v11, v11, 9, 0x7c00
	s_or_b32 vcc_lo, s0, vcc_lo
	s_wait_alu 0xfffe
	v_add_co_ci_u32_e32 v27, vcc_lo, 0, v27, vcc_lo
	v_cmp_ne_u32_e32 vcc_lo, 0, v8
	v_cndmask_b32_e64 v5, v29, v5, s1
	v_cmp_eq_u32_e64 s1, 0x40f, v12
	s_wait_alu 0xfffd
	v_cndmask_b32_e64 v8, 0, 1, vcc_lo
	v_cmp_eq_u32_e32 vcc_lo, 0x40f, v36
	v_and_b32_e32 v29, 7, v5
	v_lshrrev_b32_e32 v5, 2, v5
	s_delay_alu instid0(VALU_DEP_4)
	v_lshl_or_b32 v8, v8, 9, 0x7c00
	s_wait_alu 0xfffd
	v_cndmask_b32_e32 v11, v22, v11, vcc_lo
	v_cmp_gt_i32_e32 vcc_lo, 31, v12
	v_cmp_eq_u32_e64 s0, 3, v29
	s_wait_alu 0xfffd
	v_cndmask_b32_e32 v22, 0x7c00, v27, vcc_lo
	v_cmp_lt_i32_e32 vcc_lo, 5, v29
	s_wait_alu 0xf1ff
	s_delay_alu instid0(VALU_DEP_2)
	v_cndmask_b32_e64 v8, v22, v8, s1
	s_or_b32 vcc_lo, s0, vcc_lo
	s_wait_alu 0xfffe
	v_add_co_ci_u32_e32 v5, vcc_lo, 0, v5, vcc_lo
	v_cmp_ne_u32_e32 vcc_lo, 0, v13
	v_lshl_or_b32 v13, v3, 16, v1
	v_and_or_b32 v3, 0x8000, v9, v8
	v_add_nc_u32_e32 v9, 0xfffffc10, v26
	v_and_or_b32 v1, 0x8000, v20, v11
	s_wait_alu 0xfffd
	v_cndmask_b32_e64 v12, 0, 1, vcc_lo
	v_cmp_gt_i32_e32 vcc_lo, 31, v17
	v_add_nc_u32_e32 v11, 0xfffffc10, v28
	v_and_b32_e32 v1, 0xffff, v1
	s_delay_alu instid0(VALU_DEP_4) | instskip(SKIP_4) | instid1(VALU_DEP_2)
	v_lshl_or_b32 v12, v12, 9, 0x7c00
	s_wait_alu 0xfffd
	v_cndmask_b32_e32 v5, 0x7c00, v5, vcc_lo
	v_cmp_eq_u32_e32 vcc_lo, 0x40f, v17
	s_wait_alu 0xfffd
	v_cndmask_b32_e32 v5, v5, v12, vcc_lo
	v_cmp_ne_u32_e32 vcc_lo, v31, v32
	v_lshl_or_b32 v12, v9, 12, v18
	s_wait_alu 0xfffd
	v_cndmask_b32_e64 v8, 0, 1, vcc_lo
	v_cmp_ne_u32_e32 vcc_lo, v35, v0
	s_delay_alu instid0(VALU_DEP_2) | instskip(SKIP_3) | instid1(VALU_DEP_2)
	v_or_b32_e32 v8, v25, v8
	s_wait_alu 0xfffd
	v_cndmask_b32_e64 v0, 0, 1, vcc_lo
	v_cmp_gt_i32_e32 vcc_lo, 1, v9
	v_or_b32_e32 v0, v2, v0
	v_lshl_or_b32 v2, v11, 12, v23
	s_wait_alu 0xfffd
	v_cndmask_b32_e32 v8, v12, v8, vcc_lo
	v_cmp_gt_i32_e32 vcc_lo, 1, v11
	v_lshrrev_b32_e32 v12, 16, v14
	v_lshl_or_b32 v14, v3, 16, v1
	s_delay_alu instid0(VALU_DEP_4)
	v_and_b32_e32 v1, 7, v8
	s_wait_alu 0xfffd
	v_cndmask_b32_e32 v0, v2, v0, vcc_lo
	v_cmp_ne_u32_e32 vcc_lo, v4, v10
	v_and_or_b32 v2, 0x8000, v12, v5
	v_lshrrev_b32_e32 v5, 2, v8
	v_cmp_eq_u32_e64 s0, 3, v1
	v_and_b32_e32 v4, 7, v0
	s_wait_alu 0xfffd
	v_cndmask_b32_e64 v3, 0, 1, vcc_lo
	v_cmp_lt_i32_e32 vcc_lo, 5, v1
	v_add_nc_u32_e32 v1, 0xfffffc10, v21
	v_lshrrev_b32_e32 v0, 2, v0
	v_cmp_lt_i32_e64 s1, 5, v4
	v_or_b32_e32 v3, v33, v3
	s_or_b32 vcc_lo, s0, vcc_lo
	v_cmp_eq_u32_e64 s2, 3, v4
	s_wait_alu 0xfffe
	v_add_co_ci_u32_e32 v5, vcc_lo, 0, v5, vcc_lo
	v_cmp_ne_u32_e32 vcc_lo, 0, v18
	v_lshl_or_b32 v4, v1, 12, v6
	s_wait_alu 0xfffd
	v_cndmask_b32_e64 v8, 0, 1, vcc_lo
	v_cmp_gt_i32_e32 vcc_lo, 1, v1
	s_wait_alu 0xfffd
	v_cndmask_b32_e32 v3, v4, v3, vcc_lo
	v_cmp_gt_i32_e32 vcc_lo, 31, v9
	s_wait_alu 0xfffd
	v_cndmask_b32_e32 v4, 0x7c00, v5, vcc_lo
	s_or_b32 vcc_lo, s2, s1
	v_lshl_or_b32 v5, v8, 9, 0x7c00
	s_wait_alu 0xfffe
	v_add_co_ci_u32_e32 v0, vcc_lo, 0, v0, vcc_lo
	v_and_b32_e32 v8, 7, v3
	v_cmp_ne_u32_e32 vcc_lo, 0, v23
	v_lshrrev_b32_e32 v3, 2, v3
	v_cmp_gt_i32_e64 s1, 31, v11
	s_delay_alu instid0(VALU_DEP_4)
	v_cmp_eq_u32_e64 s0, 3, v8
	s_wait_alu 0xfffd
	v_cndmask_b32_e64 v10, 0, 1, vcc_lo
	v_cmp_lt_i32_e32 vcc_lo, 5, v8
	s_wait_alu 0xf1ff
	v_cndmask_b32_e64 v0, 0x7c00, v0, s1
	s_delay_alu instid0(VALU_DEP_3)
	v_lshl_or_b32 v8, v10, 9, 0x7c00
	s_or_b32 vcc_lo, s0, vcc_lo
	s_wait_alu 0xfffe
	v_add_co_ci_u32_e32 v3, vcc_lo, 0, v3, vcc_lo
	v_cmp_ne_u32_e32 vcc_lo, 0, v6
	s_wait_alu 0xfffd
	v_cndmask_b32_e64 v6, 0, 1, vcc_lo
	v_cmp_eq_u32_e32 vcc_lo, 0x40f, v11
	s_delay_alu instid0(VALU_DEP_2)
	v_lshl_or_b32 v6, v6, 9, 0x7c00
	s_wait_alu 0xfffd
	v_cndmask_b32_e32 v0, v0, v8, vcc_lo
	v_cmp_gt_i32_e32 vcc_lo, 31, v1
	v_lshrrev_b32_e32 v8, 16, v24
	s_wait_alu 0xfffd
	v_cndmask_b32_e32 v3, 0x7c00, v3, vcc_lo
	v_cmp_eq_u32_e32 vcc_lo, 0x40f, v9
	s_delay_alu instid0(VALU_DEP_3)
	v_and_or_b32 v8, 0x8000, v8, v0
	s_wait_alu 0xfffd
	v_cndmask_b32_e32 v4, v4, v5, vcc_lo
	v_cmp_eq_u32_e32 vcc_lo, 0x40f, v1
	v_lshrrev_b32_e32 v5, 16, v19
	s_wait_alu 0xfffd
	v_cndmask_b32_e32 v3, v3, v6, vcc_lo
	v_add_co_u32 v0, vcc_lo, v15, s6
	v_lshrrev_b32_e32 v6, 16, v7
	s_wait_alu 0xfffd
	v_add_co_ci_u32_e32 v1, vcc_lo, s7, v16, vcc_lo
	v_and_or_b32 v4, 0x8000, v5, v4
	v_and_b32_e32 v5, 0xffff, v2
	v_add_co_u32 v2, vcc_lo, v0, s6
	v_and_or_b32 v6, 0x8000, v6, v3
	s_wait_alu 0xfffd
	v_add_co_ci_u32_e32 v3, vcc_lo, s7, v1, vcc_lo
	v_and_b32_e32 v7, 0xffff, v8
	v_lshl_or_b32 v8, v4, 16, v5
	v_add_co_u32 v4, vcc_lo, v2, s6
	s_wait_alu 0xfffd
	v_add_co_ci_u32_e32 v5, vcc_lo, s7, v3, vcc_lo
	v_lshl_or_b32 v9, v6, 16, v7
	s_delay_alu instid0(VALU_DEP_3) | instskip(SKIP_1) | instid1(VALU_DEP_3)
	v_add_co_u32 v6, vcc_lo, v4, s6
	s_wait_alu 0xfffd
	v_add_co_ci_u32_e32 v7, vcc_lo, s7, v5, vcc_lo
	global_store_b32 v[15:16], v38, off
	global_store_b32 v[0:1], v13, off
	;; [unrolled: 1-line block ×5, first 2 shown]
.LBB0_2:
	s_nop 0
	s_sendmsg sendmsg(MSG_DEALLOC_VGPRS)
	s_endpgm
	.section	.rodata,"a",@progbits
	.p2align	6, 0x0
	.amdhsa_kernel bluestein_single_fwd_len3456_dim1_half_op_CI_CI
		.amdhsa_group_segment_fixed_size 13824
		.amdhsa_private_segment_fixed_size 0
		.amdhsa_kernarg_size 104
		.amdhsa_user_sgpr_count 2
		.amdhsa_user_sgpr_dispatch_ptr 0
		.amdhsa_user_sgpr_queue_ptr 0
		.amdhsa_user_sgpr_kernarg_segment_ptr 1
		.amdhsa_user_sgpr_dispatch_id 0
		.amdhsa_user_sgpr_private_segment_size 0
		.amdhsa_wavefront_size32 1
		.amdhsa_uses_dynamic_stack 0
		.amdhsa_enable_private_segment 0
		.amdhsa_system_sgpr_workgroup_id_x 1
		.amdhsa_system_sgpr_workgroup_id_y 0
		.amdhsa_system_sgpr_workgroup_id_z 0
		.amdhsa_system_sgpr_workgroup_info 0
		.amdhsa_system_vgpr_workitem_id 0
		.amdhsa_next_free_vgpr 256
		.amdhsa_next_free_sgpr 20
		.amdhsa_reserve_vcc 1
		.amdhsa_float_round_mode_32 0
		.amdhsa_float_round_mode_16_64 0
		.amdhsa_float_denorm_mode_32 3
		.amdhsa_float_denorm_mode_16_64 3
		.amdhsa_fp16_overflow 0
		.amdhsa_workgroup_processor_mode 1
		.amdhsa_memory_ordered 1
		.amdhsa_forward_progress 0
		.amdhsa_round_robin_scheduling 0
		.amdhsa_exception_fp_ieee_invalid_op 0
		.amdhsa_exception_fp_denorm_src 0
		.amdhsa_exception_fp_ieee_div_zero 0
		.amdhsa_exception_fp_ieee_overflow 0
		.amdhsa_exception_fp_ieee_underflow 0
		.amdhsa_exception_fp_ieee_inexact 0
		.amdhsa_exception_int_div_zero 0
	.end_amdhsa_kernel
	.text
.Lfunc_end0:
	.size	bluestein_single_fwd_len3456_dim1_half_op_CI_CI, .Lfunc_end0-bluestein_single_fwd_len3456_dim1_half_op_CI_CI
                                        ; -- End function
	.section	.AMDGPU.csdata,"",@progbits
; Kernel info:
; codeLenInByte = 43380
; NumSgprs: 22
; NumVgprs: 256
; ScratchSize: 0
; MemoryBound: 0
; FloatMode: 240
; IeeeMode: 1
; LDSByteSize: 13824 bytes/workgroup (compile time only)
; SGPRBlocks: 2
; VGPRBlocks: 31
; NumSGPRsForWavesPerEU: 22
; NumVGPRsForWavesPerEU: 256
; Occupancy: 5
; WaveLimiterHint : 1
; COMPUTE_PGM_RSRC2:SCRATCH_EN: 0
; COMPUTE_PGM_RSRC2:USER_SGPR: 2
; COMPUTE_PGM_RSRC2:TRAP_HANDLER: 0
; COMPUTE_PGM_RSRC2:TGID_X_EN: 1
; COMPUTE_PGM_RSRC2:TGID_Y_EN: 0
; COMPUTE_PGM_RSRC2:TGID_Z_EN: 0
; COMPUTE_PGM_RSRC2:TIDIG_COMP_CNT: 0
	.text
	.p2alignl 7, 3214868480
	.fill 96, 4, 3214868480
	.type	__hip_cuid_ecaaa14c735c824c,@object ; @__hip_cuid_ecaaa14c735c824c
	.section	.bss,"aw",@nobits
	.globl	__hip_cuid_ecaaa14c735c824c
__hip_cuid_ecaaa14c735c824c:
	.byte	0                               ; 0x0
	.size	__hip_cuid_ecaaa14c735c824c, 1

	.ident	"AMD clang version 19.0.0git (https://github.com/RadeonOpenCompute/llvm-project roc-6.4.0 25133 c7fe45cf4b819c5991fe208aaa96edf142730f1d)"
	.section	".note.GNU-stack","",@progbits
	.addrsig
	.addrsig_sym __hip_cuid_ecaaa14c735c824c
	.amdgpu_metadata
---
amdhsa.kernels:
  - .args:
      - .actual_access:  read_only
        .address_space:  global
        .offset:         0
        .size:           8
        .value_kind:     global_buffer
      - .actual_access:  read_only
        .address_space:  global
        .offset:         8
        .size:           8
        .value_kind:     global_buffer
      - .actual_access:  read_only
        .address_space:  global
        .offset:         16
        .size:           8
        .value_kind:     global_buffer
      - .actual_access:  read_only
        .address_space:  global
        .offset:         24
        .size:           8
        .value_kind:     global_buffer
      - .actual_access:  read_only
        .address_space:  global
        .offset:         32
        .size:           8
        .value_kind:     global_buffer
      - .offset:         40
        .size:           8
        .value_kind:     by_value
      - .address_space:  global
        .offset:         48
        .size:           8
        .value_kind:     global_buffer
      - .address_space:  global
        .offset:         56
        .size:           8
        .value_kind:     global_buffer
      - .address_space:  global
        .offset:         64
        .size:           8
        .value_kind:     global_buffer
      - .address_space:  global
        .offset:         72
        .size:           8
        .value_kind:     global_buffer
      - .offset:         80
        .size:           4
        .value_kind:     by_value
      - .address_space:  global
        .offset:         88
        .size:           8
        .value_kind:     global_buffer
      - .address_space:  global
        .offset:         96
        .size:           8
        .value_kind:     global_buffer
    .group_segment_fixed_size: 13824
    .kernarg_segment_align: 8
    .kernarg_segment_size: 104
    .language:       OpenCL C
    .language_version:
      - 2
      - 0
    .max_flat_workgroup_size: 144
    .name:           bluestein_single_fwd_len3456_dim1_half_op_CI_CI
    .private_segment_fixed_size: 0
    .sgpr_count:     22
    .sgpr_spill_count: 0
    .symbol:         bluestein_single_fwd_len3456_dim1_half_op_CI_CI.kd
    .uniform_work_group_size: 1
    .uses_dynamic_stack: false
    .vgpr_count:     256
    .vgpr_spill_count: 0
    .wavefront_size: 32
    .workgroup_processor_mode: 1
amdhsa.target:   amdgcn-amd-amdhsa--gfx1201
amdhsa.version:
  - 1
  - 2
...

	.end_amdgpu_metadata
